;; amdgpu-corpus repo=zjin-lcf/HeCBench kind=compiled arch=gfx950 opt=O3
	.amdgcn_target "amdgcn-amd-amdhsa--gfx950"
	.amdhsa_code_object_version 6
	.text
	.protected	_Z7set_BCsPdS_          ; -- Begin function _Z7set_BCsPdS_
	.globl	_Z7set_BCsPdS_
	.p2align	8
	.type	_Z7set_BCsPdS_,@function
_Z7set_BCsPdS_:                         ; @_Z7set_BCsPdS_
; %bb.0:
	s_load_dword s3, s[0:1], 0x1c
	s_load_dwordx4 s[4:7], s[0:1], 0x0
	s_waitcnt lgkmcnt(0)
	s_and_b32 s0, s3, 0xffff
	s_mul_i32 s2, s2, s0
	v_add_u32_e32 v2, s2, v0
	v_ashrrev_i32_e32 v3, 31, v2
	s_mov_b32 s0, 0
	v_lshlrev_b64 v[4:5], 3, v[2:3]
	s_mov_b32 s1, s0
	v_add_u32_e32 v6, 0x40401, v2
	v_lshl_add_u64 v[0:1], s[4:5], 0, v[4:5]
	v_mov_b64_e32 v[24:25], s[0:1]
	v_ashrrev_i32_e32 v7, 31, v6
	global_store_dwordx2 v[0:1], v[24:25], off offset:8
	v_add_u32_e32 v0, 0x203, v2
	v_lshlrev_b64 v[6:7], 3, v[6:7]
	v_ashrrev_i32_e32 v1, 31, v0
	v_lshl_add_u64 v[8:9], s[4:5], 0, v[6:7]
	v_add_u32_e32 v22, 1, v2
	v_lshl_add_u64 v[0:1], v[0:1], 3, s[6:7]
	global_store_dwordx2 v[8:9], v[24:25], off
	s_movk_i32 s2, 0x202
	v_lshl_add_u64 v[6:7], s[6:7], 0, v[6:7]
	global_load_dwordx2 v[8:9], v[0:1], off
	global_load_dwordx2 v[10:11], v[6:7], off
	v_mul_lo_u32 v0, v22, s2
	v_ashrrev_i32_e32 v1, 31, v0
	v_lshlrev_b64 v[6:7], 3, v[0:1]
	v_lshl_add_u64 v[12:13], s[4:5], 0, v[6:7]
	s_movk_i32 s2, 0x1000
	v_add_co_u32_e32 v16, vcc, s2, v12
	global_load_dwordx2 v[14:15], v[12:13], off offset:8
	s_nop 0
	v_addc_co_u32_e32 v17, vcc, 0, v13, vcc
	global_load_dwordx2 v[18:19], v[16:17], off
	v_add_u32_e32 v2, 0x40603, v2
	v_lshl_add_u64 v[6:7], s[6:7], 0, v[6:7]
	v_ashrrev_i32_e32 v3, 31, v2
	v_add_co_u32_e32 v20, vcc, 0x1000, v6
	s_movk_i32 s2, 0x200
	v_lshl_add_u64 v[2:3], v[2:3], 3, s[6:7]
	v_addc_co_u32_e32 v21, vcc, 0, v7, vcc
	v_lshl_add_u64 v[4:5], s[6:7], 0, v[4:5]
	v_cmp_eq_u32_e32 vcc, s2, v22
	s_waitcnt vmcnt(3)
	v_xor_b32_e32 v9, 0x80000000, v9
	s_waitcnt vmcnt(2)
	v_xor_b32_e32 v11, 0x80000000, v11
	global_store_dwordx2 v[2:3], v[10:11], off
	global_store_dwordx2 v[4:5], v[8:9], off offset:8
	s_waitcnt vmcnt(3)
	v_xor_b32_e32 v15, 0x80000000, v15
	global_store_dwordx2 v[6:7], v[24:25], off
	global_store_dwordx2 v[20:21], v[24:25], off
	;; [unrolled: 1-line block ×3, first 2 shown]
	s_waitcnt vmcnt(5)
	v_add_f64 v[2:3], -v[18:19], 2.0
	global_store_dwordx2 v[16:17], v[2:3], off offset:8
	s_and_saveexec_b64 s[2:3], vcc
	s_cbranch_execz .LBB0_2
; %bb.1:
	v_mov_b32_e32 v2, 0
	v_mov_b32_e32 v18, 0x1000
	;; [unrolled: 1-line block ×5, first 2 shown]
	global_load_dwordx2 v[6:7], v2, s[4:5] offset:8
	global_load_dwordx2 v[8:9], v3, s[6:7] offset:24
	;; [unrolled: 1-line block ×4, first 2 shown]
	global_load_dwordx2 v[12:13], v18, s[4:5]
	global_load_dwordx2 v[14:15], v17, s[4:5] offset:16
	v_lshl_add_u64 v[0:1], v[0:1], 3, s[6:7]
	v_mov_b32_e32 v3, 0x202000
	v_mov_b64_e32 v[20:21], s[0:1]
	v_add_co_u32_e32 v0, vcc, 0x1000, v0
	global_store_dwordx2 v3, v[20:21], s[4:5]
	global_store_dwordx2 v2, v[20:21], s[6:7]
	v_mov_b32_e32 v3, v2
	global_store_dwordx2 v16, v[20:21], s[6:7] offset:16
	v_addc_co_u32_e32 v1, vcc, 0, v1, vcc
	s_waitcnt vmcnt(8)
	v_xor_b32_e32 v7, 0x80000000, v7
	s_waitcnt vmcnt(7)
	v_xor_b32_e32 v9, 0x80000000, v9
	;; [unrolled: 2-line block ×4, first 2 shown]
	s_waitcnt vmcnt(3)
	v_add_f64 v[14:15], -v[14:15], 2.0
	v_add_f64 v[12:13], -v[12:13], 2.0
	global_store_dwordx2 v17, v[10:11], s[6:7] offset:24
	global_store_dwordx2 v2, v[6:7], s[4:5]
	global_store_dwordx4 v16, v[2:5], s[4:5] offset:8
	global_store_dwordx2 v18, v[12:13], s[4:5] offset:8
	s_nop 0
	v_mov_b32_e32 v4, v8
	v_mov_b32_e32 v5, v9
	global_store_dwordx2 v17, v[14:15], s[4:5] offset:24
	global_store_dwordx4 v18, v[2:5], s[6:7]
	global_store_dwordx2 v[0:1], v[20:21], off offset:8
.LBB0_2:
	s_endpgm
	.section	.rodata,"a",@progbits
	.p2align	6, 0x0
	.amdhsa_kernel _Z7set_BCsPdS_
		.amdhsa_group_segment_fixed_size 0
		.amdhsa_private_segment_fixed_size 0
		.amdhsa_kernarg_size 272
		.amdhsa_user_sgpr_count 2
		.amdhsa_user_sgpr_dispatch_ptr 0
		.amdhsa_user_sgpr_queue_ptr 0
		.amdhsa_user_sgpr_kernarg_segment_ptr 1
		.amdhsa_user_sgpr_dispatch_id 0
		.amdhsa_user_sgpr_kernarg_preload_length 0
		.amdhsa_user_sgpr_kernarg_preload_offset 0
		.amdhsa_user_sgpr_private_segment_size 0
		.amdhsa_uses_dynamic_stack 0
		.amdhsa_enable_private_segment 0
		.amdhsa_system_sgpr_workgroup_id_x 1
		.amdhsa_system_sgpr_workgroup_id_y 0
		.amdhsa_system_sgpr_workgroup_id_z 0
		.amdhsa_system_sgpr_workgroup_info 0
		.amdhsa_system_vgpr_workitem_id 0
		.amdhsa_next_free_vgpr 26
		.amdhsa_next_free_sgpr 8
		.amdhsa_accum_offset 28
		.amdhsa_reserve_vcc 1
		.amdhsa_float_round_mode_32 0
		.amdhsa_float_round_mode_16_64 0
		.amdhsa_float_denorm_mode_32 3
		.amdhsa_float_denorm_mode_16_64 3
		.amdhsa_dx10_clamp 1
		.amdhsa_ieee_mode 1
		.amdhsa_fp16_overflow 0
		.amdhsa_tg_split 0
		.amdhsa_exception_fp_ieee_invalid_op 0
		.amdhsa_exception_fp_denorm_src 0
		.amdhsa_exception_fp_ieee_div_zero 0
		.amdhsa_exception_fp_ieee_overflow 0
		.amdhsa_exception_fp_ieee_underflow 0
		.amdhsa_exception_fp_ieee_inexact 0
		.amdhsa_exception_int_div_zero 0
	.end_amdhsa_kernel
	.text
.Lfunc_end0:
	.size	_Z7set_BCsPdS_, .Lfunc_end0-_Z7set_BCsPdS_
                                        ; -- End function
	.set _Z7set_BCsPdS_.num_vgpr, 26
	.set _Z7set_BCsPdS_.num_agpr, 0
	.set _Z7set_BCsPdS_.numbered_sgpr, 8
	.set _Z7set_BCsPdS_.num_named_barrier, 0
	.set _Z7set_BCsPdS_.private_seg_size, 0
	.set _Z7set_BCsPdS_.uses_vcc, 1
	.set _Z7set_BCsPdS_.uses_flat_scratch, 0
	.set _Z7set_BCsPdS_.has_dyn_sized_stack, 0
	.set _Z7set_BCsPdS_.has_recursion, 0
	.set _Z7set_BCsPdS_.has_indirect_call, 0
	.section	.AMDGPU.csdata,"",@progbits
; Kernel info:
; codeLenInByte = 668
; TotalNumSgprs: 14
; NumVgprs: 26
; NumAgprs: 0
; TotalNumVgprs: 26
; ScratchSize: 0
; MemoryBound: 1
; FloatMode: 240
; IeeeMode: 1
; LDSByteSize: 0 bytes/workgroup (compile time only)
; SGPRBlocks: 1
; VGPRBlocks: 3
; NumSGPRsForWavesPerEU: 14
; NumVGPRsForWavesPerEU: 26
; AccumOffset: 28
; Occupancy: 8
; WaveLimiterHint : 1
; COMPUTE_PGM_RSRC2:SCRATCH_EN: 0
; COMPUTE_PGM_RSRC2:USER_SGPR: 2
; COMPUTE_PGM_RSRC2:TRAP_HANDLER: 0
; COMPUTE_PGM_RSRC2:TGID_X_EN: 1
; COMPUTE_PGM_RSRC2:TGID_Y_EN: 0
; COMPUTE_PGM_RSRC2:TGID_Z_EN: 0
; COMPUTE_PGM_RSRC2:TIDIG_COMP_CNT: 0
; COMPUTE_PGM_RSRC3_GFX90A:ACCUM_OFFSET: 6
; COMPUTE_PGM_RSRC3_GFX90A:TG_SPLIT: 0
	.text
	.protected	_Z11calculate_FdPKdS0_Pd ; -- Begin function _Z11calculate_FdPKdS0_Pd
	.globl	_Z11calculate_FdPKdS0_Pd
	.p2align	8
	.type	_Z11calculate_FdPKdS0_Pd,@function
_Z11calculate_FdPKdS0_Pd:               ; @_Z11calculate_FdPKdS0_Pd
; %bb.0:
	s_load_dword s8, s[0:1], 0x2c
	s_load_dwordx2 s[6:7], s[0:1], 0x8
	s_load_dwordx2 s[4:5], s[0:1], 0x18
	v_and_b32_e32 v1, 0x3ff, v0
	v_bfe_u32 v0, v0, 10, 10
	s_waitcnt lgkmcnt(0)
	s_lshr_b32 s9, s8, 16
	s_and_b32 s8, s8, 0xffff
	s_mul_i32 s3, s3, s9
	s_mul_i32 s2, s2, s8
	v_add_u32_e32 v5, s3, v0
	v_add_u32_e32 v4, s2, v1
	;; [unrolled: 1-line block ×3, first 2 shown]
	s_movk_i32 s2, 0x200
	v_cmp_ne_u32_e32 vcc, s2, v6
                                        ; implicit-def: $vgpr2_vgpr3
                                        ; implicit-def: $vgpr0_vgpr1
	s_and_saveexec_b64 s[2:3], vcc
	s_xor_b64 s[2:3], exec, s[2:3]
	s_cbranch_execnz .LBB1_3
; %bb.1:
	s_andn2_saveexec_b64 s[0:1], s[2:3]
	s_cbranch_execnz .LBB1_4
.LBB1_2:
	s_or_b64 exec, exec, s[0:1]
	v_lshl_add_u64 v[0:1], v[0:1], 3, s[4:5]
	global_store_dwordx2 v[0:1], v[2:3], off
	s_endpgm
.LBB1_3:
	s_load_dwordx2 s[10:11], s[0:1], 0x10
	s_load_dwordx2 s[8:9], s[0:1], 0x0
	s_movk_i32 s0, 0x202
	v_mul_lo_u32 v5, v5, s0
	v_add_u32_e32 v15, 1, v4
	v_add_u32_e32 v26, 0x404, v5
	v_mul_lo_u32 v14, v6, s0
	v_add_u32_e32 v2, v26, v15
	v_add_u32_e32 v0, v14, v15
	v_ashrrev_i32_e32 v3, 31, v2
	v_add_u32_e32 v14, v14, v4
	v_lshlrev_b64 v[10:11], 3, v[2:3]
	v_add_u32_e32 v2, 2, v14
	v_ashrrev_i32_e32 v1, 31, v0
	v_ashrrev_i32_e32 v3, 31, v2
	v_lshlrev_b64 v[6:7], 3, v[0:1]
	v_lshl_add_u64 v[16:17], v[2:3], 3, s[6:7]
	v_add_u32_e32 v2, v5, v15
	v_lshl_add_u64 v[8:9], s[6:7], 0, v[6:7]
	v_ashrrev_i32_e32 v3, 31, v2
	v_ashrrev_i32_e32 v15, 31, v14
	v_lshl_add_u64 v[12:13], s[6:7], 0, v[10:11]
	v_lshl_add_u64 v[18:19], v[2:3], 3, s[6:7]
	global_load_dwordx2 v[2:3], v[8:9], off
	global_load_dwordx2 v[20:21], v[12:13], off
	;; [unrolled: 1-line block ×4, first 2 shown]
	v_lshlrev_b64 v[8:9], 3, v[14:15]
	v_add_u32_e32 v4, v26, v4
	v_lshl_add_u64 v[12:13], s[6:7], 0, v[8:9]
	s_waitcnt lgkmcnt(0)
	v_lshl_add_u64 v[6:7], s[10:11], 0, v[6:7]
	v_ashrrev_i32_e32 v5, 31, v4
	global_load_dwordx2 v[12:13], v[12:13], off
	v_lshl_add_u64 v[10:11], s[10:11], 0, v[10:11]
	v_lshl_add_u64 v[8:9], s[10:11], 0, v[8:9]
	;; [unrolled: 1-line block ×3, first 2 shown]
	global_load_dwordx2 v[14:15], v[6:7], off
	global_load_dwordx2 v[16:17], v[10:11], off
	global_load_dwordx2 v[18:19], v[8:9], off
	global_load_dwordx2 v[26:27], v[4:5], off
	s_mov_b32 s0, 0xcccccccd
	s_mov_b32 s10, 0
	;; [unrolled: 1-line block ×4, first 2 shown]
	s_waitcnt vmcnt(7)
	v_add_f64 v[8:9], v[2:3], v[20:21]
	v_add_f64 v[28:29], v[2:3], -v[20:21]
	s_waitcnt vmcnt(5)
	v_add_f64 v[10:11], v[2:3], v[24:25]
	v_add_f64 v[30:31], v[24:25], -v[2:3]
	v_fmac_f64_e32 v[20:21], -2.0, v[2:3]
	v_mul_f64 v[32:33], v[10:11], v[10:11]
	v_mul_f64 v[10:11], v[30:31], |v[10:11]|
	s_waitcnt vmcnt(4)
	v_add_f64 v[4:5], v[2:3], v[12:13]
	v_add_f64 v[6:7], v[12:13], -v[2:3]
	s_waitcnt vmcnt(2)
	v_add_f64 v[14:15], v[14:15], v[16:17]
	v_add_f64 v[16:17], v[2:3], v[22:23]
	s_waitcnt vmcnt(0)
	v_add_f64 v[18:19], v[18:19], v[26:27]
	v_add_f64 v[26:27], v[2:3], -v[22:23]
	v_fmac_f64_e32 v[22:23], -2.0, v[2:3]
	v_add_f64 v[12:13], v[22:23], v[12:13]
	v_mul_f64 v[4:5], v[4:5], v[18:19]
	v_mul_f64 v[6:7], v[6:7], |v[18:19]|
	v_add_f64 v[18:19], v[20:21], v[24:25]
	v_fma_f64 v[20:21], v[8:9], v[8:9], -v[32:33]
	v_fma_f64 v[8:9], v[28:29], |v[8:9]|, -v[10:11]
	v_ldexp_f64 v[10:11], v[12:13], 18
	v_fmac_f64_e32 v[10:11], 0x41100000, v[18:19]
	v_fmac_f64_e32 v[20:21], s[0:1], v[8:9]
	v_div_scale_f64 v[8:9], s[12:13], s[10:11], s[10:11], v[10:11]
	v_rcp_f64_e32 v[12:13], v[8:9]
	v_fma_f64 v[4:5], v[16:17], v[14:15], -v[4:5]
	v_fma_f64 v[6:7], v[26:27], |v[14:15]|, -v[6:7]
	v_fmac_f64_e32 v[4:5], s[0:1], v[6:7]
	v_fma_f64 v[14:15], -v[8:9], v[12:13], 1.0
	v_fmac_f64_e32 v[12:13], v[12:13], v[14:15]
	v_fma_f64 v[14:15], -v[8:9], v[12:13], 1.0
	v_div_scale_f64 v[6:7], vcc, v[10:11], s[10:11], v[10:11]
	v_fmac_f64_e32 v[12:13], v[12:13], v[14:15]
	v_mul_f64 v[14:15], v[6:7], v[12:13]
	v_fma_f64 v[6:7], -v[8:9], v[14:15], v[6:7]
	s_nop 0
	v_div_fmas_f64 v[6:7], v[6:7], v[12:13], v[14:15]
	v_div_fixup_f64 v[6:7], v[6:7], s[10:11], v[10:11]
	v_fmac_f64_e32 v[6:7], 0xc0600000, v[20:21]
	v_fmac_f64_e32 v[6:7], 0xc0600000, v[4:5]
	v_add_f64 v[4:5], v[6:7], 0
	v_fmac_f64_e32 v[2:3], s[8:9], v[4:5]
                                        ; implicit-def: $vgpr4
	s_andn2_saveexec_b64 s[0:1], s[2:3]
	s_cbranch_execz .LBB1_2
.LBB1_4:
	v_ashrrev_i32_e32 v5, 31, v4
	v_lshlrev_b64 v[6:7], 3, v[4:5]
	v_add_u32_e32 v0, 0x40401, v4
	v_lshl_add_u64 v[8:9], s[6:7], 0, v[6:7]
	v_ashrrev_i32_e32 v1, 31, v0
	v_lshl_add_u64 v[4:5], v[0:1], 3, s[6:7]
	global_load_dwordx2 v[10:11], v[8:9], off offset:8
	global_load_dwordx2 v[2:3], v[4:5], off
	v_lshl_add_u64 v[4:5], s[4:5], 0, v[6:7]
	s_waitcnt vmcnt(1)
	global_store_dwordx2 v[4:5], v[10:11], off offset:8
	s_or_b64 exec, exec, s[0:1]
	v_lshl_add_u64 v[0:1], v[0:1], 3, s[4:5]
	s_waitcnt vmcnt(1)
	global_store_dwordx2 v[0:1], v[2:3], off
	s_endpgm
	.section	.rodata,"a",@progbits
	.p2align	6, 0x0
	.amdhsa_kernel _Z11calculate_FdPKdS0_Pd
		.amdhsa_group_segment_fixed_size 0
		.amdhsa_private_segment_fixed_size 0
		.amdhsa_kernarg_size 288
		.amdhsa_user_sgpr_count 2
		.amdhsa_user_sgpr_dispatch_ptr 0
		.amdhsa_user_sgpr_queue_ptr 0
		.amdhsa_user_sgpr_kernarg_segment_ptr 1
		.amdhsa_user_sgpr_dispatch_id 0
		.amdhsa_user_sgpr_kernarg_preload_length 0
		.amdhsa_user_sgpr_kernarg_preload_offset 0
		.amdhsa_user_sgpr_private_segment_size 0
		.amdhsa_uses_dynamic_stack 0
		.amdhsa_enable_private_segment 0
		.amdhsa_system_sgpr_workgroup_id_x 1
		.amdhsa_system_sgpr_workgroup_id_y 1
		.amdhsa_system_sgpr_workgroup_id_z 0
		.amdhsa_system_sgpr_workgroup_info 0
		.amdhsa_system_vgpr_workitem_id 1
		.amdhsa_next_free_vgpr 34
		.amdhsa_next_free_sgpr 14
		.amdhsa_accum_offset 36
		.amdhsa_reserve_vcc 1
		.amdhsa_float_round_mode_32 0
		.amdhsa_float_round_mode_16_64 0
		.amdhsa_float_denorm_mode_32 3
		.amdhsa_float_denorm_mode_16_64 3
		.amdhsa_dx10_clamp 1
		.amdhsa_ieee_mode 1
		.amdhsa_fp16_overflow 0
		.amdhsa_tg_split 0
		.amdhsa_exception_fp_ieee_invalid_op 0
		.amdhsa_exception_fp_denorm_src 0
		.amdhsa_exception_fp_ieee_div_zero 0
		.amdhsa_exception_fp_ieee_overflow 0
		.amdhsa_exception_fp_ieee_underflow 0
		.amdhsa_exception_fp_ieee_inexact 0
		.amdhsa_exception_int_div_zero 0
	.end_amdhsa_kernel
	.text
.Lfunc_end1:
	.size	_Z11calculate_FdPKdS0_Pd, .Lfunc_end1-_Z11calculate_FdPKdS0_Pd
                                        ; -- End function
	.set _Z11calculate_FdPKdS0_Pd.num_vgpr, 34
	.set _Z11calculate_FdPKdS0_Pd.num_agpr, 0
	.set _Z11calculate_FdPKdS0_Pd.numbered_sgpr, 14
	.set _Z11calculate_FdPKdS0_Pd.num_named_barrier, 0
	.set _Z11calculate_FdPKdS0_Pd.private_seg_size, 0
	.set _Z11calculate_FdPKdS0_Pd.uses_vcc, 1
	.set _Z11calculate_FdPKdS0_Pd.uses_flat_scratch, 0
	.set _Z11calculate_FdPKdS0_Pd.has_dyn_sized_stack, 0
	.set _Z11calculate_FdPKdS0_Pd.has_recursion, 0
	.set _Z11calculate_FdPKdS0_Pd.has_indirect_call, 0
	.section	.AMDGPU.csdata,"",@progbits
; Kernel info:
; codeLenInByte = 856
; TotalNumSgprs: 20
; NumVgprs: 34
; NumAgprs: 0
; TotalNumVgprs: 34
; ScratchSize: 0
; MemoryBound: 0
; FloatMode: 240
; IeeeMode: 1
; LDSByteSize: 0 bytes/workgroup (compile time only)
; SGPRBlocks: 2
; VGPRBlocks: 4
; NumSGPRsForWavesPerEU: 20
; NumVGPRsForWavesPerEU: 34
; AccumOffset: 36
; Occupancy: 8
; WaveLimiterHint : 0
; COMPUTE_PGM_RSRC2:SCRATCH_EN: 0
; COMPUTE_PGM_RSRC2:USER_SGPR: 2
; COMPUTE_PGM_RSRC2:TRAP_HANDLER: 0
; COMPUTE_PGM_RSRC2:TGID_X_EN: 1
; COMPUTE_PGM_RSRC2:TGID_Y_EN: 1
; COMPUTE_PGM_RSRC2:TGID_Z_EN: 0
; COMPUTE_PGM_RSRC2:TIDIG_COMP_CNT: 1
; COMPUTE_PGM_RSRC3_GFX90A:ACCUM_OFFSET: 8
; COMPUTE_PGM_RSRC3_GFX90A:TG_SPLIT: 0
	.text
	.protected	_Z11calculate_GdPKdS0_Pd ; -- Begin function _Z11calculate_GdPKdS0_Pd
	.globl	_Z11calculate_GdPKdS0_Pd
	.p2align	8
	.type	_Z11calculate_GdPKdS0_Pd,@function
_Z11calculate_GdPKdS0_Pd:               ; @_Z11calculate_GdPKdS0_Pd
; %bb.0:
	s_load_dword s8, s[0:1], 0x2c
	s_load_dwordx4 s[4:7], s[0:1], 0x10
	v_and_b32_e32 v1, 0x3ff, v0
	v_bfe_u32 v0, v0, 10, 10
                                        ; implicit-def: $vgpr2_vgpr3
	s_waitcnt lgkmcnt(0)
	s_lshr_b32 s9, s8, 16
	s_and_b32 s8, s8, 0xffff
	s_mul_i32 s2, s2, s8
	v_add_u32_e32 v5, s2, v1
	v_add_u32_e32 v7, 1, v5
	s_mul_i32 s3, s3, s9
	s_movk_i32 s2, 0x200
	v_add_u32_e32 v0, s3, v0
	v_cmp_ne_u32_e32 vcc, s2, v7
	s_movk_i32 s2, 0x202
	v_mul_lo_u32 v6, v0, s2
	v_add_u32_e32 v4, 0x202, v6
                                        ; implicit-def: $vgpr0_vgpr1
	s_and_saveexec_b64 s[2:3], vcc
	s_xor_b64 s[2:3], exec, s[2:3]
	s_cbranch_execnz .LBB2_3
; %bb.1:
	s_andn2_saveexec_b64 s[0:1], s[2:3]
	s_cbranch_execnz .LBB2_4
.LBB2_2:
	s_or_b64 exec, exec, s[0:1]
	v_lshl_add_u64 v[0:1], v[0:1], 3, s[6:7]
	global_store_dwordx2 v[0:1], v[2:3], off
	s_endpgm
.LBB2_3:
	v_add_u32_e32 v30, 2, v5
	v_add_u32_e32 v2, v4, v30
	v_ashrrev_i32_e32 v3, 31, v2
	v_lshlrev_b64 v[10:11], 3, v[2:3]
	v_add_u32_e32 v2, v6, v7
	s_load_dwordx4 s[8:11], s[0:1], 0x0
	v_ashrrev_i32_e32 v3, 31, v2
	s_movk_i32 s0, 0x405
	v_lshlrev_b64 v[12:13], 3, v[2:3]
	v_add3_u32 v2, v5, v6, s0
	v_ashrrev_i32_e32 v3, 31, v2
	v_add_u32_e32 v0, v4, v7
	v_lshl_add_u64 v[18:19], v[2:3], 3, s[4:5]
	v_add_u32_e32 v2, v4, v5
	v_ashrrev_i32_e32 v1, 31, v0
	v_ashrrev_i32_e32 v3, 31, v2
	v_lshlrev_b64 v[8:9], 3, v[0:1]
	v_lshl_add_u64 v[4:5], v[2:3], 3, s[4:5]
	v_lshl_add_u64 v[20:21], s[4:5], 0, v[12:13]
	v_add_u32_e32 v6, v6, v30
	v_lshl_add_u64 v[14:15], s[4:5], 0, v[8:9]
	v_lshl_add_u64 v[16:17], s[4:5], 0, v[10:11]
	global_load_dwordx2 v[22:23], v[20:21], off
	global_load_dwordx2 v[2:3], v[14:15], off
	;; [unrolled: 1-line block ×5, first 2 shown]
	s_waitcnt lgkmcnt(0)
	v_lshl_add_u64 v[4:5], s[10:11], 0, v[8:9]
	v_ashrrev_i32_e32 v7, 31, v6
	v_lshl_add_u64 v[8:9], s[10:11], 0, v[10:11]
	v_lshl_add_u64 v[10:11], s[10:11], 0, v[12:13]
	;; [unrolled: 1-line block ×3, first 2 shown]
	global_load_dwordx2 v[12:13], v[4:5], off
	global_load_dwordx2 v[14:15], v[8:9], off
	;; [unrolled: 1-line block ×4, first 2 shown]
	s_mov_b32 s0, 0xcccccccd
	s_mov_b32 s10, 0
	;; [unrolled: 1-line block ×4, first 2 shown]
	s_waitcnt vmcnt(7)
	v_add_f64 v[4:5], v[2:3], v[22:23]
	s_waitcnt vmcnt(6)
	v_add_f64 v[8:9], v[2:3], v[24:25]
	;; [unrolled: 2-line block ×4, first 2 shown]
	v_add_f64 v[30:31], v[28:29], -v[2:3]
	v_add_f64 v[34:35], v[2:3], -v[26:27]
	v_fmac_f64_e32 v[26:27], -2.0, v[2:3]
	v_add_f64 v[20:21], v[2:3], -v[24:25]
	v_fmac_f64_e32 v[24:25], -2.0, v[2:3]
	v_mul_f64 v[36:37], v[10:11], v[10:11]
	v_mul_f64 v[10:11], v[30:31], |v[10:11]|
	s_waitcnt vmcnt(2)
	v_add_f64 v[12:13], v[12:13], v[14:15]
	s_waitcnt vmcnt(0)
	v_add_f64 v[14:15], v[16:17], v[18:19]
	v_add_f64 v[16:17], v[26:27], v[22:23]
	v_add_f64 v[6:7], v[22:23], -v[2:3]
	v_add_f64 v[18:19], v[24:25], v[28:29]
	v_fma_f64 v[22:23], v[8:9], v[8:9], -v[36:37]
	v_fma_f64 v[8:9], v[20:21], |v[8:9]|, -v[10:11]
	v_ldexp_f64 v[10:11], v[16:17], 18
	v_fmac_f64_e32 v[10:11], 0x41100000, v[18:19]
	v_mul_f64 v[4:5], v[14:15], v[4:5]
	v_mul_f64 v[6:7], |v[14:15]|, v[6:7]
	v_fmac_f64_e32 v[22:23], s[0:1], v[8:9]
	v_div_scale_f64 v[8:9], s[12:13], s[10:11], s[10:11], v[10:11]
	v_fma_f64 v[4:5], v[12:13], v[32:33], -v[4:5]
	v_fma_f64 v[6:7], |v[12:13]|, v[34:35], -v[6:7]
	v_rcp_f64_e32 v[12:13], v[8:9]
	v_fmac_f64_e32 v[4:5], s[0:1], v[6:7]
	v_div_scale_f64 v[6:7], vcc, v[10:11], s[10:11], v[10:11]
	v_fma_f64 v[14:15], -v[8:9], v[12:13], 1.0
	v_fmac_f64_e32 v[12:13], v[12:13], v[14:15]
	v_fma_f64 v[14:15], -v[8:9], v[12:13], 1.0
	v_fmac_f64_e32 v[12:13], v[12:13], v[14:15]
	v_mul_f64 v[14:15], v[6:7], v[12:13]
	v_fma_f64 v[6:7], -v[8:9], v[14:15], v[6:7]
	v_div_fmas_f64 v[6:7], v[6:7], v[12:13], v[14:15]
	v_div_fixup_f64 v[6:7], v[6:7], s[10:11], v[10:11]
	v_fmac_f64_e32 v[6:7], 0xc0600000, v[22:23]
	v_fmac_f64_e32 v[6:7], 0xc0600000, v[4:5]
	v_add_f64 v[4:5], v[6:7], 0
	v_fmac_f64_e32 v[2:3], s[8:9], v[4:5]
                                        ; implicit-def: $vgpr4
                                        ; implicit-def: $vgpr6
	s_andn2_saveexec_b64 s[0:1], s[2:3]
	s_cbranch_execz .LBB2_2
.LBB2_4:
	v_ashrrev_i32_e32 v5, 31, v4
	v_lshlrev_b64 v[4:5], 3, v[4:5]
	v_add_u32_e32 v0, 0x402, v6
	v_lshl_add_u64 v[8:9], s[4:5], 0, v[4:5]
	v_ashrrev_i32_e32 v1, 31, v0
	v_lshl_add_u64 v[6:7], v[0:1], 3, s[4:5]
	global_load_dwordx2 v[10:11], v[8:9], off
	global_load_dwordx2 v[2:3], v[6:7], off
	v_lshl_add_u64 v[4:5], s[6:7], 0, v[4:5]
	s_waitcnt vmcnt(1)
	global_store_dwordx2 v[4:5], v[10:11], off
	s_or_b64 exec, exec, s[0:1]
	v_lshl_add_u64 v[0:1], v[0:1], 3, s[6:7]
	s_waitcnt vmcnt(1)
	global_store_dwordx2 v[0:1], v[2:3], off
	s_endpgm
	.section	.rodata,"a",@progbits
	.p2align	6, 0x0
	.amdhsa_kernel _Z11calculate_GdPKdS0_Pd
		.amdhsa_group_segment_fixed_size 0
		.amdhsa_private_segment_fixed_size 0
		.amdhsa_kernarg_size 288
		.amdhsa_user_sgpr_count 2
		.amdhsa_user_sgpr_dispatch_ptr 0
		.amdhsa_user_sgpr_queue_ptr 0
		.amdhsa_user_sgpr_kernarg_segment_ptr 1
		.amdhsa_user_sgpr_dispatch_id 0
		.amdhsa_user_sgpr_kernarg_preload_length 0
		.amdhsa_user_sgpr_kernarg_preload_offset 0
		.amdhsa_user_sgpr_private_segment_size 0
		.amdhsa_uses_dynamic_stack 0
		.amdhsa_enable_private_segment 0
		.amdhsa_system_sgpr_workgroup_id_x 1
		.amdhsa_system_sgpr_workgroup_id_y 1
		.amdhsa_system_sgpr_workgroup_id_z 0
		.amdhsa_system_sgpr_workgroup_info 0
		.amdhsa_system_vgpr_workitem_id 1
		.amdhsa_next_free_vgpr 38
		.amdhsa_next_free_sgpr 14
		.amdhsa_accum_offset 40
		.amdhsa_reserve_vcc 1
		.amdhsa_float_round_mode_32 0
		.amdhsa_float_round_mode_16_64 0
		.amdhsa_float_denorm_mode_32 3
		.amdhsa_float_denorm_mode_16_64 3
		.amdhsa_dx10_clamp 1
		.amdhsa_ieee_mode 1
		.amdhsa_fp16_overflow 0
		.amdhsa_tg_split 0
		.amdhsa_exception_fp_ieee_invalid_op 0
		.amdhsa_exception_fp_denorm_src 0
		.amdhsa_exception_fp_ieee_div_zero 0
		.amdhsa_exception_fp_ieee_overflow 0
		.amdhsa_exception_fp_ieee_underflow 0
		.amdhsa_exception_fp_ieee_inexact 0
		.amdhsa_exception_int_div_zero 0
	.end_amdhsa_kernel
	.text
.Lfunc_end2:
	.size	_Z11calculate_GdPKdS0_Pd, .Lfunc_end2-_Z11calculate_GdPKdS0_Pd
                                        ; -- End function
	.set _Z11calculate_GdPKdS0_Pd.num_vgpr, 38
	.set _Z11calculate_GdPKdS0_Pd.num_agpr, 0
	.set _Z11calculate_GdPKdS0_Pd.numbered_sgpr, 14
	.set _Z11calculate_GdPKdS0_Pd.num_named_barrier, 0
	.set _Z11calculate_GdPKdS0_Pd.private_seg_size, 0
	.set _Z11calculate_GdPKdS0_Pd.uses_vcc, 1
	.set _Z11calculate_GdPKdS0_Pd.uses_flat_scratch, 0
	.set _Z11calculate_GdPKdS0_Pd.has_dyn_sized_stack, 0
	.set _Z11calculate_GdPKdS0_Pd.has_recursion, 0
	.set _Z11calculate_GdPKdS0_Pd.has_indirect_call, 0
	.section	.AMDGPU.csdata,"",@progbits
; Kernel info:
; codeLenInByte = 840
; TotalNumSgprs: 20
; NumVgprs: 38
; NumAgprs: 0
; TotalNumVgprs: 38
; ScratchSize: 0
; MemoryBound: 0
; FloatMode: 240
; IeeeMode: 1
; LDSByteSize: 0 bytes/workgroup (compile time only)
; SGPRBlocks: 2
; VGPRBlocks: 4
; NumSGPRsForWavesPerEU: 20
; NumVGPRsForWavesPerEU: 38
; AccumOffset: 40
; Occupancy: 8
; WaveLimiterHint : 0
; COMPUTE_PGM_RSRC2:SCRATCH_EN: 0
; COMPUTE_PGM_RSRC2:USER_SGPR: 2
; COMPUTE_PGM_RSRC2:TRAP_HANDLER: 0
; COMPUTE_PGM_RSRC2:TGID_X_EN: 1
; COMPUTE_PGM_RSRC2:TGID_Y_EN: 1
; COMPUTE_PGM_RSRC2:TGID_Z_EN: 0
; COMPUTE_PGM_RSRC2:TIDIG_COMP_CNT: 1
; COMPUTE_PGM_RSRC3_GFX90A:ACCUM_OFFSET: 9
; COMPUTE_PGM_RSRC3_GFX90A:TG_SPLIT: 0
	.text
	.protected	_Z12sum_pressurePKdS0_Pd ; -- Begin function _Z12sum_pressurePKdS0_Pd
	.globl	_Z12sum_pressurePKdS0_Pd
	.p2align	8
	.type	_Z12sum_pressurePKdS0_Pd,@function
_Z12sum_pressurePKdS0_Pd:               ; @_Z12sum_pressurePKdS0_Pd
; %bb.0:
	s_load_dword s4, s[0:1], 0x24
	s_load_dwordx4 s[8:11], s[0:1], 0x0
	s_load_dword s6, s[0:1], 0x1c
	v_and_b32_e32 v1, 0x3ff, v0
	v_bfe_u32 v0, v0, 10, 10
	s_waitcnt lgkmcnt(0)
	s_lshr_b32 s5, s4, 16
	s_and_b32 s4, s4, 0xffff
	s_mul_i32 s5, s3, s5
	s_mul_i32 s4, s2, s4
	v_add_u32_e32 v0, s5, v0
	s_movk_i32 s5, 0x102
	v_mul_lo_u32 v0, v0, s5
	v_add_u32_e32 v2, s4, v1
	s_movk_i32 s4, 0x103
	v_add3_u32 v2, v2, v0, s4
	v_ashrrev_i32_e32 v3, 31, v2
	v_lshlrev_b64 v[2:3], 3, v[2:3]
	v_lshl_add_u64 v[4:5], s[8:9], 0, v[2:3]
	v_lshl_add_u64 v[2:3], s[10:11], 0, v[2:3]
	global_load_dwordx2 v[6:7], v[2:3], off
	global_load_dwordx2 v[8:9], v[4:5], off
	v_lshlrev_b32_e32 v0, 3, v1
	v_cmp_gt_u32_e32 vcc, 64, v1
	s_waitcnt vmcnt(1)
	v_mul_f64 v[2:3], v[6:7], v[6:7]
	s_waitcnt vmcnt(0)
	v_fmac_f64_e32 v[2:3], v[8:9], v[8:9]
	ds_write_b64 v0, v[2:3]
	s_waitcnt lgkmcnt(0)
	s_barrier
	s_and_saveexec_b64 s[4:5], vcc
	s_cbranch_execz .LBB3_2
; %bb.1:
	ds_read2st64_b64 v[2:5], v0 offset1:1
	s_waitcnt lgkmcnt(0)
	v_add_f64 v[2:3], v[4:5], v[2:3]
	ds_write_b64 v0, v[2:3]
.LBB3_2:
	s_or_b64 exec, exec, s[4:5]
	v_cmp_gt_u32_e32 vcc, 32, v1
	s_waitcnt lgkmcnt(0)
	s_barrier
	s_and_saveexec_b64 s[4:5], vcc
	s_cbranch_execz .LBB3_4
; %bb.3:
	ds_read2_b64 v[2:5], v0 offset1:32
	s_waitcnt lgkmcnt(0)
	v_add_f64 v[2:3], v[4:5], v[2:3]
	ds_write_b64 v0, v[2:3]
.LBB3_4:
	s_or_b64 exec, exec, s[4:5]
	v_cmp_gt_u32_e32 vcc, 16, v1
	s_waitcnt lgkmcnt(0)
	s_barrier
	s_and_saveexec_b64 s[4:5], vcc
	s_cbranch_execz .LBB3_6
; %bb.5:
	ds_read2_b64 v[2:5], v0 offset1:16
	s_waitcnt lgkmcnt(0)
	v_add_f64 v[2:3], v[4:5], v[2:3]
	ds_write_b64 v0, v[2:3]
.LBB3_6:
	;; [unrolled: 12-line block ×5, first 2 shown]
	s_or_b64 exec, exec, s[4:5]
	v_cmp_eq_u32_e32 vcc, 0, v1
	s_waitcnt lgkmcnt(0)
	s_barrier
	s_and_saveexec_b64 s[4:5], vcc
	s_cbranch_execz .LBB3_14
; %bb.13:
	ds_read2_b64 v[2:5], v0 offset1:1
	s_waitcnt lgkmcnt(0)
	v_add_f64 v[2:3], v[4:5], v[2:3]
	ds_write_b64 v0, v[2:3]
.LBB3_14:
	s_or_b64 exec, exec, s[4:5]
	s_waitcnt lgkmcnt(0)
	s_barrier
	s_and_saveexec_b64 s[4:5], vcc
	s_cbranch_execz .LBB3_16
; %bb.15:
	s_load_dwordx2 s[0:1], s[0:1], 0x10
	v_mov_b32_e32 v2, 0
	s_mul_i32 s2, s6, s2
	ds_read_b64 v[0:1], v2
	s_add_i32 s2, s2, s3
	s_mov_b32 s3, 0
	s_lshl_b64 s[2:3], s[2:3], 3
	s_waitcnt lgkmcnt(0)
	s_add_u32 s0, s0, s2
	s_addc_u32 s1, s1, s3
	global_store_dwordx2 v2, v[0:1], s[0:1]
.LBB3_16:
	s_endpgm
	.section	.rodata,"a",@progbits
	.p2align	6, 0x0
	.amdhsa_kernel _Z12sum_pressurePKdS0_Pd
		.amdhsa_group_segment_fixed_size 1024
		.amdhsa_private_segment_fixed_size 0
		.amdhsa_kernarg_size 280
		.amdhsa_user_sgpr_count 2
		.amdhsa_user_sgpr_dispatch_ptr 0
		.amdhsa_user_sgpr_queue_ptr 0
		.amdhsa_user_sgpr_kernarg_segment_ptr 1
		.amdhsa_user_sgpr_dispatch_id 0
		.amdhsa_user_sgpr_kernarg_preload_length 0
		.amdhsa_user_sgpr_kernarg_preload_offset 0
		.amdhsa_user_sgpr_private_segment_size 0
		.amdhsa_uses_dynamic_stack 0
		.amdhsa_enable_private_segment 0
		.amdhsa_system_sgpr_workgroup_id_x 1
		.amdhsa_system_sgpr_workgroup_id_y 1
		.amdhsa_system_sgpr_workgroup_id_z 0
		.amdhsa_system_sgpr_workgroup_info 0
		.amdhsa_system_vgpr_workitem_id 1
		.amdhsa_next_free_vgpr 10
		.amdhsa_next_free_sgpr 12
		.amdhsa_accum_offset 12
		.amdhsa_reserve_vcc 1
		.amdhsa_float_round_mode_32 0
		.amdhsa_float_round_mode_16_64 0
		.amdhsa_float_denorm_mode_32 3
		.amdhsa_float_denorm_mode_16_64 3
		.amdhsa_dx10_clamp 1
		.amdhsa_ieee_mode 1
		.amdhsa_fp16_overflow 0
		.amdhsa_tg_split 0
		.amdhsa_exception_fp_ieee_invalid_op 0
		.amdhsa_exception_fp_denorm_src 0
		.amdhsa_exception_fp_ieee_div_zero 0
		.amdhsa_exception_fp_ieee_overflow 0
		.amdhsa_exception_fp_ieee_underflow 0
		.amdhsa_exception_fp_ieee_inexact 0
		.amdhsa_exception_int_div_zero 0
	.end_amdhsa_kernel
	.text
.Lfunc_end3:
	.size	_Z12sum_pressurePKdS0_Pd, .Lfunc_end3-_Z12sum_pressurePKdS0_Pd
                                        ; -- End function
	.set _Z12sum_pressurePKdS0_Pd.num_vgpr, 10
	.set _Z12sum_pressurePKdS0_Pd.num_agpr, 0
	.set _Z12sum_pressurePKdS0_Pd.numbered_sgpr, 12
	.set _Z12sum_pressurePKdS0_Pd.num_named_barrier, 0
	.set _Z12sum_pressurePKdS0_Pd.private_seg_size, 0
	.set _Z12sum_pressurePKdS0_Pd.uses_vcc, 1
	.set _Z12sum_pressurePKdS0_Pd.uses_flat_scratch, 0
	.set _Z12sum_pressurePKdS0_Pd.has_dyn_sized_stack, 0
	.set _Z12sum_pressurePKdS0_Pd.has_recursion, 0
	.set _Z12sum_pressurePKdS0_Pd.has_indirect_call, 0
	.section	.AMDGPU.csdata,"",@progbits
; Kernel info:
; codeLenInByte = 612
; TotalNumSgprs: 18
; NumVgprs: 10
; NumAgprs: 0
; TotalNumVgprs: 10
; ScratchSize: 0
; MemoryBound: 0
; FloatMode: 240
; IeeeMode: 1
; LDSByteSize: 1024 bytes/workgroup (compile time only)
; SGPRBlocks: 2
; VGPRBlocks: 1
; NumSGPRsForWavesPerEU: 18
; NumVGPRsForWavesPerEU: 10
; AccumOffset: 12
; Occupancy: 8
; WaveLimiterHint : 0
; COMPUTE_PGM_RSRC2:SCRATCH_EN: 0
; COMPUTE_PGM_RSRC2:USER_SGPR: 2
; COMPUTE_PGM_RSRC2:TRAP_HANDLER: 0
; COMPUTE_PGM_RSRC2:TGID_X_EN: 1
; COMPUTE_PGM_RSRC2:TGID_Y_EN: 1
; COMPUTE_PGM_RSRC2:TGID_Z_EN: 0
; COMPUTE_PGM_RSRC2:TIDIG_COMP_CNT: 1
; COMPUTE_PGM_RSRC3_GFX90A:ACCUM_OFFSET: 2
; COMPUTE_PGM_RSRC3_GFX90A:TG_SPLIT: 0
	.text
	.protected	_Z17set_horz_pres_BCsPdS_ ; -- Begin function _Z17set_horz_pres_BCsPdS_
	.globl	_Z17set_horz_pres_BCsPdS_
	.p2align	8
	.type	_Z17set_horz_pres_BCsPdS_,@function
_Z17set_horz_pres_BCsPdS_:              ; @_Z17set_horz_pres_BCsPdS_
; %bb.0:
	s_load_dword s3, s[0:1], 0x1c
	s_load_dwordx4 s[4:7], s[0:1], 0x0
	s_movk_i32 s0, 0x204
	s_waitcnt lgkmcnt(0)
	s_and_b32 s1, s3, 0xffff
	s_mul_i32 s2, s2, s1
	v_add_u32_e32 v0, s2, v0
	v_mul_lo_u32 v0, v0, s0
	v_ashrrev_i32_e32 v1, 31, v0
	v_add_u32_e32 v6, 0x205, v0
	v_lshlrev_b64 v[2:3], 3, v[0:1]
	v_ashrrev_i32_e32 v7, 31, v6
	v_add_u32_e32 v8, 0x202, v0
	v_lshl_add_u64 v[4:5], s[4:5], 0, v[2:3]
	v_lshl_add_u64 v[6:7], v[6:7], 3, s[6:7]
	v_ashrrev_i32_e32 v9, 31, v8
	global_load_dwordx2 v[4:5], v[4:5], off offset:2072
	v_lshl_add_u64 v[8:9], v[8:9], 3, s[6:7]
	global_load_dwordx2 v[10:11], v[6:7], off
	global_load_dwordx2 v[12:13], v[8:9], off
	v_add_u32_e32 v6, 0x304, v0
	v_ashrrev_i32_e32 v7, 31, v6
	v_lshl_add_u64 v[6:7], v[6:7], 3, s[4:5]
	global_load_dwordx2 v[6:7], v[6:7], off
	v_add_u32_e32 v8, 0x204, v0
	v_add_u32_e32 v14, 0x203, v0
	;; [unrolled: 1-line block ×3, first 2 shown]
	v_ashrrev_i32_e32 v9, 31, v8
	v_ashrrev_i32_e32 v15, 31, v14
	;; [unrolled: 1-line block ×3, first 2 shown]
	v_lshl_add_u64 v[2:3], s[6:7], 0, v[2:3]
	v_lshl_add_u64 v[8:9], v[8:9], 3, s[4:5]
	;; [unrolled: 1-line block ×4, first 2 shown]
	s_waitcnt vmcnt(3)
	global_store_dwordx2 v[2:3], v[4:5], off offset:2064
	s_waitcnt vmcnt(3)
	global_store_dwordx2 v[8:9], v[10:11], off
	s_waitcnt vmcnt(3)
	global_store_dwordx2 v[14:15], v[12:13], off
	;; [unrolled: 2-line block ×3, first 2 shown]
	s_endpgm
	.section	.rodata,"a",@progbits
	.p2align	6, 0x0
	.amdhsa_kernel _Z17set_horz_pres_BCsPdS_
		.amdhsa_group_segment_fixed_size 0
		.amdhsa_private_segment_fixed_size 0
		.amdhsa_kernarg_size 272
		.amdhsa_user_sgpr_count 2
		.amdhsa_user_sgpr_dispatch_ptr 0
		.amdhsa_user_sgpr_queue_ptr 0
		.amdhsa_user_sgpr_kernarg_segment_ptr 1
		.amdhsa_user_sgpr_dispatch_id 0
		.amdhsa_user_sgpr_kernarg_preload_length 0
		.amdhsa_user_sgpr_kernarg_preload_offset 0
		.amdhsa_user_sgpr_private_segment_size 0
		.amdhsa_uses_dynamic_stack 0
		.amdhsa_enable_private_segment 0
		.amdhsa_system_sgpr_workgroup_id_x 1
		.amdhsa_system_sgpr_workgroup_id_y 0
		.amdhsa_system_sgpr_workgroup_id_z 0
		.amdhsa_system_sgpr_workgroup_info 0
		.amdhsa_system_vgpr_workitem_id 0
		.amdhsa_next_free_vgpr 16
		.amdhsa_next_free_sgpr 8
		.amdhsa_accum_offset 16
		.amdhsa_reserve_vcc 0
		.amdhsa_float_round_mode_32 0
		.amdhsa_float_round_mode_16_64 0
		.amdhsa_float_denorm_mode_32 3
		.amdhsa_float_denorm_mode_16_64 3
		.amdhsa_dx10_clamp 1
		.amdhsa_ieee_mode 1
		.amdhsa_fp16_overflow 0
		.amdhsa_tg_split 0
		.amdhsa_exception_fp_ieee_invalid_op 0
		.amdhsa_exception_fp_denorm_src 0
		.amdhsa_exception_fp_ieee_div_zero 0
		.amdhsa_exception_fp_ieee_overflow 0
		.amdhsa_exception_fp_ieee_underflow 0
		.amdhsa_exception_fp_ieee_inexact 0
		.amdhsa_exception_int_div_zero 0
	.end_amdhsa_kernel
	.text
.Lfunc_end4:
	.size	_Z17set_horz_pres_BCsPdS_, .Lfunc_end4-_Z17set_horz_pres_BCsPdS_
                                        ; -- End function
	.set _Z17set_horz_pres_BCsPdS_.num_vgpr, 16
	.set _Z17set_horz_pres_BCsPdS_.num_agpr, 0
	.set _Z17set_horz_pres_BCsPdS_.numbered_sgpr, 8
	.set _Z17set_horz_pres_BCsPdS_.num_named_barrier, 0
	.set _Z17set_horz_pres_BCsPdS_.private_seg_size, 0
	.set _Z17set_horz_pres_BCsPdS_.uses_vcc, 0
	.set _Z17set_horz_pres_BCsPdS_.uses_flat_scratch, 0
	.set _Z17set_horz_pres_BCsPdS_.has_dyn_sized_stack, 0
	.set _Z17set_horz_pres_BCsPdS_.has_recursion, 0
	.set _Z17set_horz_pres_BCsPdS_.has_indirect_call, 0
	.section	.AMDGPU.csdata,"",@progbits
; Kernel info:
; codeLenInByte = 280
; TotalNumSgprs: 14
; NumVgprs: 16
; NumAgprs: 0
; TotalNumVgprs: 16
; ScratchSize: 0
; MemoryBound: 0
; FloatMode: 240
; IeeeMode: 1
; LDSByteSize: 0 bytes/workgroup (compile time only)
; SGPRBlocks: 1
; VGPRBlocks: 1
; NumSGPRsForWavesPerEU: 14
; NumVGPRsForWavesPerEU: 16
; AccumOffset: 16
; Occupancy: 8
; WaveLimiterHint : 0
; COMPUTE_PGM_RSRC2:SCRATCH_EN: 0
; COMPUTE_PGM_RSRC2:USER_SGPR: 2
; COMPUTE_PGM_RSRC2:TRAP_HANDLER: 0
; COMPUTE_PGM_RSRC2:TGID_X_EN: 1
; COMPUTE_PGM_RSRC2:TGID_Y_EN: 0
; COMPUTE_PGM_RSRC2:TGID_Z_EN: 0
; COMPUTE_PGM_RSRC2:TIDIG_COMP_CNT: 0
; COMPUTE_PGM_RSRC3_GFX90A:ACCUM_OFFSET: 3
; COMPUTE_PGM_RSRC3_GFX90A:TG_SPLIT: 0
	.text
	.protected	_Z17set_vert_pres_BCsPdS_ ; -- Begin function _Z17set_vert_pres_BCsPdS_
	.globl	_Z17set_vert_pres_BCsPdS_
	.p2align	8
	.type	_Z17set_vert_pres_BCsPdS_,@function
_Z17set_vert_pres_BCsPdS_:              ; @_Z17set_vert_pres_BCsPdS_
; %bb.0:
	s_load_dword s3, s[0:1], 0x1c
	s_load_dwordx4 s[4:7], s[0:1], 0x0
	s_waitcnt lgkmcnt(0)
	s_and_b32 s0, s3, 0xffff
	s_mul_i32 s2, s2, s0
	v_add_u32_e32 v0, s2, v0
	v_ashrrev_i32_e32 v1, 31, v0
	v_lshlrev_b64 v[2:3], 3, v[0:1]
	v_add_u32_e32 v10, 0x20401, v0
	v_lshl_add_u64 v[4:5], s[4:5], 0, v[2:3]
	v_ashrrev_i32_e32 v11, 31, v10
	v_lshl_add_u64 v[2:3], s[6:7], 0, v[2:3]
	global_load_dwordx2 v[6:7], v[4:5], off offset:2072
	global_load_dwordx2 v[8:9], v[2:3], off offset:2072
	v_lshlrev_b64 v[10:11], 3, v[10:11]
	v_lshl_add_u64 v[12:13], s[4:5], 0, v[10:11]
	global_load_dwordx2 v[12:13], v[12:13], off
	v_lshl_add_u64 v[10:11], s[6:7], 0, v[10:11]
	global_load_dwordx2 v[10:11], v[10:11], off
	v_add_u32_e32 v0, 0x20503, v0
	v_ashrrev_i32_e32 v1, 31, v0
	v_lshlrev_b64 v[0:1], 3, v[0:1]
	v_lshl_add_u64 v[14:15], s[6:7], 0, v[0:1]
	v_lshl_add_u64 v[0:1], s[4:5], 0, v[0:1]
	s_waitcnt vmcnt(3)
	global_store_dwordx2 v[2:3], v[6:7], off offset:8
	s_waitcnt vmcnt(3)
	global_store_dwordx2 v[4:5], v[8:9], off offset:8
	s_waitcnt vmcnt(3)
	global_store_dwordx2 v[14:15], v[12:13], off
	s_waitcnt vmcnt(3)
	global_store_dwordx2 v[0:1], v[10:11], off
	s_endpgm
	.section	.rodata,"a",@progbits
	.p2align	6, 0x0
	.amdhsa_kernel _Z17set_vert_pres_BCsPdS_
		.amdhsa_group_segment_fixed_size 0
		.amdhsa_private_segment_fixed_size 0
		.amdhsa_kernarg_size 272
		.amdhsa_user_sgpr_count 2
		.amdhsa_user_sgpr_dispatch_ptr 0
		.amdhsa_user_sgpr_queue_ptr 0
		.amdhsa_user_sgpr_kernarg_segment_ptr 1
		.amdhsa_user_sgpr_dispatch_id 0
		.amdhsa_user_sgpr_kernarg_preload_length 0
		.amdhsa_user_sgpr_kernarg_preload_offset 0
		.amdhsa_user_sgpr_private_segment_size 0
		.amdhsa_uses_dynamic_stack 0
		.amdhsa_enable_private_segment 0
		.amdhsa_system_sgpr_workgroup_id_x 1
		.amdhsa_system_sgpr_workgroup_id_y 0
		.amdhsa_system_sgpr_workgroup_id_z 0
		.amdhsa_system_sgpr_workgroup_info 0
		.amdhsa_system_vgpr_workitem_id 0
		.amdhsa_next_free_vgpr 16
		.amdhsa_next_free_sgpr 8
		.amdhsa_accum_offset 16
		.amdhsa_reserve_vcc 0
		.amdhsa_float_round_mode_32 0
		.amdhsa_float_round_mode_16_64 0
		.amdhsa_float_denorm_mode_32 3
		.amdhsa_float_denorm_mode_16_64 3
		.amdhsa_dx10_clamp 1
		.amdhsa_ieee_mode 1
		.amdhsa_fp16_overflow 0
		.amdhsa_tg_split 0
		.amdhsa_exception_fp_ieee_invalid_op 0
		.amdhsa_exception_fp_denorm_src 0
		.amdhsa_exception_fp_ieee_div_zero 0
		.amdhsa_exception_fp_ieee_overflow 0
		.amdhsa_exception_fp_ieee_underflow 0
		.amdhsa_exception_fp_ieee_inexact 0
		.amdhsa_exception_int_div_zero 0
	.end_amdhsa_kernel
	.text
.Lfunc_end5:
	.size	_Z17set_vert_pres_BCsPdS_, .Lfunc_end5-_Z17set_vert_pres_BCsPdS_
                                        ; -- End function
	.set _Z17set_vert_pres_BCsPdS_.num_vgpr, 16
	.set _Z17set_vert_pres_BCsPdS_.num_agpr, 0
	.set _Z17set_vert_pres_BCsPdS_.numbered_sgpr, 8
	.set _Z17set_vert_pres_BCsPdS_.num_named_barrier, 0
	.set _Z17set_vert_pres_BCsPdS_.private_seg_size, 0
	.set _Z17set_vert_pres_BCsPdS_.uses_vcc, 0
	.set _Z17set_vert_pres_BCsPdS_.uses_flat_scratch, 0
	.set _Z17set_vert_pres_BCsPdS_.has_dyn_sized_stack, 0
	.set _Z17set_vert_pres_BCsPdS_.has_recursion, 0
	.set _Z17set_vert_pres_BCsPdS_.has_indirect_call, 0
	.section	.AMDGPU.csdata,"",@progbits
; Kernel info:
; codeLenInByte = 220
; TotalNumSgprs: 14
; NumVgprs: 16
; NumAgprs: 0
; TotalNumVgprs: 16
; ScratchSize: 0
; MemoryBound: 1
; FloatMode: 240
; IeeeMode: 1
; LDSByteSize: 0 bytes/workgroup (compile time only)
; SGPRBlocks: 1
; VGPRBlocks: 1
; NumSGPRsForWavesPerEU: 14
; NumVGPRsForWavesPerEU: 16
; AccumOffset: 16
; Occupancy: 8
; WaveLimiterHint : 1
; COMPUTE_PGM_RSRC2:SCRATCH_EN: 0
; COMPUTE_PGM_RSRC2:USER_SGPR: 2
; COMPUTE_PGM_RSRC2:TRAP_HANDLER: 0
; COMPUTE_PGM_RSRC2:TGID_X_EN: 1
; COMPUTE_PGM_RSRC2:TGID_Y_EN: 0
; COMPUTE_PGM_RSRC2:TGID_Z_EN: 0
; COMPUTE_PGM_RSRC2:TIDIG_COMP_CNT: 0
; COMPUTE_PGM_RSRC3_GFX90A:ACCUM_OFFSET: 3
; COMPUTE_PGM_RSRC3_GFX90A:TG_SPLIT: 0
	.text
	.protected	_Z10red_kerneldPKdS0_S0_Pd ; -- Begin function _Z10red_kerneldPKdS0_S0_Pd
	.globl	_Z10red_kerneldPKdS0_S0_Pd
	.p2align	8
	.type	_Z10red_kerneldPKdS0_S0_Pd,@function
_Z10red_kerneldPKdS0_S0_Pd:             ; @_Z10red_kerneldPKdS0_S0_Pd
; %bb.0:
	s_load_dword s14, s[0:1], 0x34
	s_load_dwordx2 s[12:13], s[0:1], 0x20
	s_load_dwordx8 s[4:11], s[0:1], 0x0
	v_and_b32_e32 v1, 0x3ff, v0
	v_bfe_u32 v0, v0, 10, 10
	s_waitcnt lgkmcnt(0)
	s_and_b32 s0, s14, 0xffff
	s_lshr_b32 s1, s14, 16
	s_mul_i32 s3, s3, s1
	s_mul_i32 s2, s2, s0
	v_add3_u32 v2, v1, s2, 1
	v_add_u32_e32 v3, s3, v0
	s_movk_i32 s0, 0x102
	v_mad_u64_u32 v[0:1], s[0:1], v3, s0, v[2:3]
	v_add_u32_e32 v4, 0x102, v0
	v_add_u32_e32 v12, 1, v3
	v_ashrrev_i32_e32 v5, 31, v4
	v_ashrrev_i32_e32 v1, 31, v0
	v_lshl_add_u64 v[6:7], v[4:5], 3, s[12:13]
	v_lshl_add_u64 v[10:11], v[0:1], 3, s[10:11]
	v_add_u32_e32 v0, 0x204, v0
	v_and_b32_e32 v22, 1, v12
	v_and_b32_e32 v5, 1, v3
	v_ashrrev_i32_e32 v1, 31, v0
	v_sub_u32_e32 v12, v4, v22
	v_add_u32_e32 v4, v4, v5
	v_lshl_add_u64 v[0:1], v[0:1], 3, s[10:11]
	v_ashrrev_i32_e32 v13, 31, v12
	v_ashrrev_i32_e32 v5, 31, v4
	global_load_dwordx2 v[8:9], v[6:7], off
	v_lshl_add_u64 v[12:13], v[12:13], 3, s[10:11]
	v_lshl_add_u64 v[4:5], v[4:5], 3, s[10:11]
	global_load_dwordx2 v[14:15], v[10:11], off
	global_load_dwordx2 v[16:17], v[0:1], off
	global_load_dwordx2 v[18:19], v[12:13], off
	global_load_dwordx2 v[20:21], v[4:5], off
	v_lshlrev_b32_e32 v0, 1, v2
	v_sub_u32_e32 v0, v0, v22
	s_movk_i32 s0, 0x202
	v_mad_u64_u32 v[0:1], s[0:1], v3, s0, v[0:1]
	v_add_u32_e32 v2, 0x202, v0
	v_ashrrev_i32_e32 v3, 31, v2
	v_ashrrev_i32_e32 v1, 31, v0
	v_lshlrev_b64 v[2:3], 3, v[2:3]
	v_lshl_add_u64 v[10:11], v[0:1], 3, s[6:7]
	v_add_u32_e32 v0, 0x201, v0
	v_lshl_add_u64 v[4:5], s[6:7], 0, v[2:3]
	v_lshl_add_u64 v[2:3], s[8:9], 0, v[2:3]
	v_ashrrev_i32_e32 v1, 31, v0
	global_load_dwordx2 v[12:13], v[4:5], off
	global_load_dwordx2 v[22:23], v[10:11], off
	v_lshl_add_u64 v[0:1], v[0:1], 3, s[8:9]
	global_load_dwordx2 v[4:5], v[2:3], off
	global_load_dwordx2 v[10:11], v[0:1], off
	s_mov_b32 s0, 0x66666666
	s_mov_b32 s1, 0xbfe66666
	;; [unrolled: 1-line block ×4, first 2 shown]
	s_waitcnt vmcnt(8)
	v_mul_f64 v[0:1], v[8:9], s[0:1]
	s_waitcnt vmcnt(6)
	v_add_f64 v[2:3], v[14:15], v[16:17]
	s_waitcnt vmcnt(4)
	v_add_f64 v[8:9], v[18:19], v[20:21]
	v_ldexp_f64 v[8:9], v[8:9], 18
	v_fmac_f64_e32 v[8:9], 0x41100000, v[2:3]
	s_waitcnt vmcnt(2)
	v_add_f64 v[12:13], v[12:13], -v[22:23]
	s_waitcnt vmcnt(0)
	v_add_f64 v[4:5], v[4:5], -v[10:11]
	v_ldexp_f64 v[4:5], v[4:5], 9
	v_fmac_f64_e32 v[4:5], 0x40800000, v[12:13]
	v_div_scale_f64 v[10:11], s[0:1], s[4:5], s[4:5], v[4:5]
	v_rcp_f64_e32 v[12:13], v[10:11]
	v_div_scale_f64 v[2:3], vcc, v[4:5], s[4:5], v[4:5]
	v_fma_f64 v[14:15], -v[10:11], v[12:13], 1.0
	v_fmac_f64_e32 v[12:13], v[12:13], v[14:15]
	v_fma_f64 v[14:15], -v[10:11], v[12:13], 1.0
	v_fmac_f64_e32 v[12:13], v[12:13], v[14:15]
	v_mul_f64 v[14:15], v[2:3], v[12:13]
	v_fma_f64 v[2:3], -v[10:11], v[14:15], v[2:3]
	v_div_fmas_f64 v[2:3], v[2:3], v[12:13], v[14:15]
	v_div_fixup_f64 v[2:3], v[2:3], s[4:5], v[4:5]
	v_add_f64 v[2:3], v[8:9], -v[2:3]
	v_mul_f64 v[2:3], v[2:3], s[2:3]
	v_fmac_f64_e32 v[0:1], 0x3eb00000, v[2:3]
	global_store_dwordx2 v[6:7], v[0:1], off
	s_endpgm
	.section	.rodata,"a",@progbits
	.p2align	6, 0x0
	.amdhsa_kernel _Z10red_kerneldPKdS0_S0_Pd
		.amdhsa_group_segment_fixed_size 0
		.amdhsa_private_segment_fixed_size 0
		.amdhsa_kernarg_size 296
		.amdhsa_user_sgpr_count 2
		.amdhsa_user_sgpr_dispatch_ptr 0
		.amdhsa_user_sgpr_queue_ptr 0
		.amdhsa_user_sgpr_kernarg_segment_ptr 1
		.amdhsa_user_sgpr_dispatch_id 0
		.amdhsa_user_sgpr_kernarg_preload_length 0
		.amdhsa_user_sgpr_kernarg_preload_offset 0
		.amdhsa_user_sgpr_private_segment_size 0
		.amdhsa_uses_dynamic_stack 0
		.amdhsa_enable_private_segment 0
		.amdhsa_system_sgpr_workgroup_id_x 1
		.amdhsa_system_sgpr_workgroup_id_y 1
		.amdhsa_system_sgpr_workgroup_id_z 0
		.amdhsa_system_sgpr_workgroup_info 0
		.amdhsa_system_vgpr_workitem_id 1
		.amdhsa_next_free_vgpr 24
		.amdhsa_next_free_sgpr 15
		.amdhsa_accum_offset 24
		.amdhsa_reserve_vcc 1
		.amdhsa_float_round_mode_32 0
		.amdhsa_float_round_mode_16_64 0
		.amdhsa_float_denorm_mode_32 3
		.amdhsa_float_denorm_mode_16_64 3
		.amdhsa_dx10_clamp 1
		.amdhsa_ieee_mode 1
		.amdhsa_fp16_overflow 0
		.amdhsa_tg_split 0
		.amdhsa_exception_fp_ieee_invalid_op 0
		.amdhsa_exception_fp_denorm_src 0
		.amdhsa_exception_fp_ieee_div_zero 0
		.amdhsa_exception_fp_ieee_overflow 0
		.amdhsa_exception_fp_ieee_underflow 0
		.amdhsa_exception_fp_ieee_inexact 0
		.amdhsa_exception_int_div_zero 0
	.end_amdhsa_kernel
	.text
.Lfunc_end6:
	.size	_Z10red_kerneldPKdS0_S0_Pd, .Lfunc_end6-_Z10red_kerneldPKdS0_S0_Pd
                                        ; -- End function
	.set _Z10red_kerneldPKdS0_S0_Pd.num_vgpr, 24
	.set _Z10red_kerneldPKdS0_S0_Pd.num_agpr, 0
	.set _Z10red_kerneldPKdS0_S0_Pd.numbered_sgpr, 15
	.set _Z10red_kerneldPKdS0_S0_Pd.num_named_barrier, 0
	.set _Z10red_kerneldPKdS0_S0_Pd.private_seg_size, 0
	.set _Z10red_kerneldPKdS0_S0_Pd.uses_vcc, 1
	.set _Z10red_kerneldPKdS0_S0_Pd.uses_flat_scratch, 0
	.set _Z10red_kerneldPKdS0_S0_Pd.has_dyn_sized_stack, 0
	.set _Z10red_kerneldPKdS0_S0_Pd.has_recursion, 0
	.set _Z10red_kerneldPKdS0_S0_Pd.has_indirect_call, 0
	.section	.AMDGPU.csdata,"",@progbits
; Kernel info:
; codeLenInByte = 580
; TotalNumSgprs: 21
; NumVgprs: 24
; NumAgprs: 0
; TotalNumVgprs: 24
; ScratchSize: 0
; MemoryBound: 0
; FloatMode: 240
; IeeeMode: 1
; LDSByteSize: 0 bytes/workgroup (compile time only)
; SGPRBlocks: 2
; VGPRBlocks: 2
; NumSGPRsForWavesPerEU: 21
; NumVGPRsForWavesPerEU: 24
; AccumOffset: 24
; Occupancy: 8
; WaveLimiterHint : 0
; COMPUTE_PGM_RSRC2:SCRATCH_EN: 0
; COMPUTE_PGM_RSRC2:USER_SGPR: 2
; COMPUTE_PGM_RSRC2:TRAP_HANDLER: 0
; COMPUTE_PGM_RSRC2:TGID_X_EN: 1
; COMPUTE_PGM_RSRC2:TGID_Y_EN: 1
; COMPUTE_PGM_RSRC2:TGID_Z_EN: 0
; COMPUTE_PGM_RSRC2:TIDIG_COMP_CNT: 1
; COMPUTE_PGM_RSRC3_GFX90A:ACCUM_OFFSET: 5
; COMPUTE_PGM_RSRC3_GFX90A:TG_SPLIT: 0
	.text
	.protected	_Z12black_kerneldPKdS0_S0_Pd ; -- Begin function _Z12black_kerneldPKdS0_S0_Pd
	.globl	_Z12black_kerneldPKdS0_S0_Pd
	.p2align	8
	.type	_Z12black_kerneldPKdS0_S0_Pd,@function
_Z12black_kerneldPKdS0_S0_Pd:           ; @_Z12black_kerneldPKdS0_S0_Pd
; %bb.0:
	s_load_dword s14, s[0:1], 0x34
	s_load_dwordx2 s[12:13], s[0:1], 0x20
	s_load_dwordx8 s[4:11], s[0:1], 0x0
	v_and_b32_e32 v1, 0x3ff, v0
	v_bfe_u32 v0, v0, 10, 10
	s_waitcnt lgkmcnt(0)
	s_and_b32 s0, s14, 0xffff
	s_lshr_b32 s1, s14, 16
	s_mul_i32 s3, s3, s1
	s_mul_i32 s2, s2, s0
	v_add3_u32 v2, v1, s2, 1
	v_add_u32_e32 v3, s3, v0
	s_movk_i32 s0, 0x102
	v_mad_u64_u32 v[0:1], s[0:1], v3, s0, v[2:3]
	v_add_u32_e32 v4, 0x102, v0
	v_add_u32_e32 v14, 1, v3
	v_ashrrev_i32_e32 v5, 31, v4
	v_ashrrev_i32_e32 v1, 31, v0
	v_lshl_add_u64 v[6:7], v[4:5], 3, s[12:13]
	v_lshl_add_u64 v[10:11], v[0:1], 3, s[10:11]
	v_add_u32_e32 v0, 0x204, v0
	v_and_b32_e32 v22, 1, v3
	v_and_b32_e32 v5, 1, v14
	v_ashrrev_i32_e32 v1, 31, v0
	v_sub_u32_e32 v12, v4, v22
	v_add_u32_e32 v4, v4, v5
	v_lshl_add_u64 v[0:1], v[0:1], 3, s[10:11]
	v_ashrrev_i32_e32 v13, 31, v12
	v_ashrrev_i32_e32 v5, 31, v4
	global_load_dwordx2 v[8:9], v[6:7], off
	v_lshl_add_u64 v[12:13], v[12:13], 3, s[10:11]
	v_lshl_add_u64 v[4:5], v[4:5], 3, s[10:11]
	global_load_dwordx2 v[14:15], v[10:11], off
	global_load_dwordx2 v[16:17], v[0:1], off
	;; [unrolled: 1-line block ×4, first 2 shown]
	v_lshlrev_b32_e32 v0, 1, v2
	v_sub_u32_e32 v0, v0, v22
	s_movk_i32 s0, 0x202
	v_mad_u64_u32 v[0:1], s[0:1], v3, s0, v[0:1]
	v_add_u32_e32 v2, 0x202, v0
	v_ashrrev_i32_e32 v3, 31, v2
	v_ashrrev_i32_e32 v1, 31, v0
	v_lshlrev_b64 v[2:3], 3, v[2:3]
	v_lshl_add_u64 v[10:11], v[0:1], 3, s[6:7]
	v_add_u32_e32 v0, 0x201, v0
	v_lshl_add_u64 v[4:5], s[6:7], 0, v[2:3]
	v_lshl_add_u64 v[2:3], s[8:9], 0, v[2:3]
	v_ashrrev_i32_e32 v1, 31, v0
	global_load_dwordx2 v[12:13], v[4:5], off
	global_load_dwordx2 v[22:23], v[10:11], off
	v_lshl_add_u64 v[0:1], v[0:1], 3, s[8:9]
	global_load_dwordx2 v[4:5], v[2:3], off
	global_load_dwordx2 v[10:11], v[0:1], off
	s_mov_b32 s0, 0x66666666
	s_mov_b32 s1, 0xbfe66666
	;; [unrolled: 1-line block ×4, first 2 shown]
	s_waitcnt vmcnt(8)
	v_mul_f64 v[0:1], v[8:9], s[0:1]
	s_waitcnt vmcnt(6)
	v_add_f64 v[2:3], v[14:15], v[16:17]
	s_waitcnt vmcnt(4)
	v_add_f64 v[8:9], v[18:19], v[20:21]
	v_ldexp_f64 v[8:9], v[8:9], 18
	v_fmac_f64_e32 v[8:9], 0x41100000, v[2:3]
	s_waitcnt vmcnt(2)
	v_add_f64 v[12:13], v[12:13], -v[22:23]
	s_waitcnt vmcnt(0)
	v_add_f64 v[4:5], v[4:5], -v[10:11]
	v_ldexp_f64 v[4:5], v[4:5], 9
	v_fmac_f64_e32 v[4:5], 0x40800000, v[12:13]
	v_div_scale_f64 v[10:11], s[0:1], s[4:5], s[4:5], v[4:5]
	v_rcp_f64_e32 v[12:13], v[10:11]
	v_div_scale_f64 v[2:3], vcc, v[4:5], s[4:5], v[4:5]
	v_fma_f64 v[14:15], -v[10:11], v[12:13], 1.0
	v_fmac_f64_e32 v[12:13], v[12:13], v[14:15]
	v_fma_f64 v[14:15], -v[10:11], v[12:13], 1.0
	v_fmac_f64_e32 v[12:13], v[12:13], v[14:15]
	v_mul_f64 v[14:15], v[2:3], v[12:13]
	v_fma_f64 v[2:3], -v[10:11], v[14:15], v[2:3]
	v_div_fmas_f64 v[2:3], v[2:3], v[12:13], v[14:15]
	v_div_fixup_f64 v[2:3], v[2:3], s[4:5], v[4:5]
	v_add_f64 v[2:3], v[8:9], -v[2:3]
	v_mul_f64 v[2:3], v[2:3], s[2:3]
	v_fmac_f64_e32 v[0:1], 0x3eb00000, v[2:3]
	global_store_dwordx2 v[6:7], v[0:1], off
	s_endpgm
	.section	.rodata,"a",@progbits
	.p2align	6, 0x0
	.amdhsa_kernel _Z12black_kerneldPKdS0_S0_Pd
		.amdhsa_group_segment_fixed_size 0
		.amdhsa_private_segment_fixed_size 0
		.amdhsa_kernarg_size 296
		.amdhsa_user_sgpr_count 2
		.amdhsa_user_sgpr_dispatch_ptr 0
		.amdhsa_user_sgpr_queue_ptr 0
		.amdhsa_user_sgpr_kernarg_segment_ptr 1
		.amdhsa_user_sgpr_dispatch_id 0
		.amdhsa_user_sgpr_kernarg_preload_length 0
		.amdhsa_user_sgpr_kernarg_preload_offset 0
		.amdhsa_user_sgpr_private_segment_size 0
		.amdhsa_uses_dynamic_stack 0
		.amdhsa_enable_private_segment 0
		.amdhsa_system_sgpr_workgroup_id_x 1
		.amdhsa_system_sgpr_workgroup_id_y 1
		.amdhsa_system_sgpr_workgroup_id_z 0
		.amdhsa_system_sgpr_workgroup_info 0
		.amdhsa_system_vgpr_workitem_id 1
		.amdhsa_next_free_vgpr 24
		.amdhsa_next_free_sgpr 15
		.amdhsa_accum_offset 24
		.amdhsa_reserve_vcc 1
		.amdhsa_float_round_mode_32 0
		.amdhsa_float_round_mode_16_64 0
		.amdhsa_float_denorm_mode_32 3
		.amdhsa_float_denorm_mode_16_64 3
		.amdhsa_dx10_clamp 1
		.amdhsa_ieee_mode 1
		.amdhsa_fp16_overflow 0
		.amdhsa_tg_split 0
		.amdhsa_exception_fp_ieee_invalid_op 0
		.amdhsa_exception_fp_denorm_src 0
		.amdhsa_exception_fp_ieee_div_zero 0
		.amdhsa_exception_fp_ieee_overflow 0
		.amdhsa_exception_fp_ieee_underflow 0
		.amdhsa_exception_fp_ieee_inexact 0
		.amdhsa_exception_int_div_zero 0
	.end_amdhsa_kernel
	.text
.Lfunc_end7:
	.size	_Z12black_kerneldPKdS0_S0_Pd, .Lfunc_end7-_Z12black_kerneldPKdS0_S0_Pd
                                        ; -- End function
	.set _Z12black_kerneldPKdS0_S0_Pd.num_vgpr, 24
	.set _Z12black_kerneldPKdS0_S0_Pd.num_agpr, 0
	.set _Z12black_kerneldPKdS0_S0_Pd.numbered_sgpr, 15
	.set _Z12black_kerneldPKdS0_S0_Pd.num_named_barrier, 0
	.set _Z12black_kerneldPKdS0_S0_Pd.private_seg_size, 0
	.set _Z12black_kerneldPKdS0_S0_Pd.uses_vcc, 1
	.set _Z12black_kerneldPKdS0_S0_Pd.uses_flat_scratch, 0
	.set _Z12black_kerneldPKdS0_S0_Pd.has_dyn_sized_stack, 0
	.set _Z12black_kerneldPKdS0_S0_Pd.has_recursion, 0
	.set _Z12black_kerneldPKdS0_S0_Pd.has_indirect_call, 0
	.section	.AMDGPU.csdata,"",@progbits
; Kernel info:
; codeLenInByte = 580
; TotalNumSgprs: 21
; NumVgprs: 24
; NumAgprs: 0
; TotalNumVgprs: 24
; ScratchSize: 0
; MemoryBound: 0
; FloatMode: 240
; IeeeMode: 1
; LDSByteSize: 0 bytes/workgroup (compile time only)
; SGPRBlocks: 2
; VGPRBlocks: 2
; NumSGPRsForWavesPerEU: 21
; NumVGPRsForWavesPerEU: 24
; AccumOffset: 24
; Occupancy: 8
; WaveLimiterHint : 0
; COMPUTE_PGM_RSRC2:SCRATCH_EN: 0
; COMPUTE_PGM_RSRC2:USER_SGPR: 2
; COMPUTE_PGM_RSRC2:TRAP_HANDLER: 0
; COMPUTE_PGM_RSRC2:TGID_X_EN: 1
; COMPUTE_PGM_RSRC2:TGID_Y_EN: 1
; COMPUTE_PGM_RSRC2:TGID_Z_EN: 0
; COMPUTE_PGM_RSRC2:TIDIG_COMP_CNT: 1
; COMPUTE_PGM_RSRC3_GFX90A:ACCUM_OFFSET: 5
; COMPUTE_PGM_RSRC3_GFX90A:TG_SPLIT: 0
	.text
	.protected	_Z13calc_residualdPKdS0_S0_S0_Pd ; -- Begin function _Z13calc_residualdPKdS0_S0_S0_Pd
	.globl	_Z13calc_residualdPKdS0_S0_S0_Pd
	.p2align	8
	.type	_Z13calc_residualdPKdS0_S0_S0_Pd,@function
_Z13calc_residualdPKdS0_S0_S0_Pd:       ; @_Z13calc_residualdPKdS0_S0_S0_Pd
; %bb.0:
	s_load_dword s15, s[0:1], 0x3c
	s_load_dwordx2 s[12:13], s[0:1], 0x20
	s_load_dword s14, s[0:1], 0x34
	s_load_dwordx8 s[4:11], s[0:1], 0x0
	v_and_b32_e32 v10, 0x3ff, v0
	s_waitcnt lgkmcnt(0)
	s_and_b32 s16, s15, 0xffff
	s_lshr_b32 s15, s15, 16
	s_mul_i32 s15, s3, s15
	v_bfe_u32 v0, v0, 10, 10
	s_mul_i32 s16, s2, s16
	v_add_u32_e32 v11, s15, v0
	v_add3_u32 v12, v10, s16, 1
	v_add_u32_e32 v13, 1, v11
	s_movk_i32 s15, 0x102
	v_mad_u64_u32 v[8:9], s[16:17], v11, s15, v[12:13]
	v_add_u32_e32 v2, 0x102, v8
	v_ashrrev_i32_e32 v3, 31, v2
	s_movk_i32 s15, 0x202
	v_lshlrev_b64 v[4:5], 3, v[2:3]
	v_and_b32_e32 v3, 1, v13
	v_and_b32_e32 v40, 1, v11
	v_mul_lo_u32 v11, v11, s15
	v_lshlrev_b32_e32 v37, 1, v12
	v_add_u32_e32 v36, 0x202, v11
	v_sub_u32_e32 v28, v37, v3
	v_add_u32_e32 v12, v28, v36
	v_ashrrev_i32_e32 v13, 31, v12
	v_lshlrev_b64 v[12:13], 3, v[12:13]
	v_add_u32_e32 v22, v28, v11
	v_lshl_add_u64 v[0:1], s[10:11], 0, v[4:5]
	v_lshl_add_u64 v[20:21], s[6:7], 0, v[12:13]
	v_ashrrev_i32_e32 v23, 31, v22
	v_add_u32_e32 v38, 0x201, v11
	global_load_dwordx2 v[0:1], v[0:1], off
	v_lshl_add_u64 v[22:23], v[22:23], 3, s[6:7]
	global_load_dwordx2 v[24:25], v[20:21], off
	global_load_dwordx2 v[26:27], v[22:23], off
	v_add_u32_e32 v20, v38, v28
	v_lshl_add_u64 v[12:13], s[8:9], 0, v[12:13]
	v_ashrrev_i32_e32 v21, 31, v20
	v_lshl_add_u64 v[20:21], v[20:21], 3, s[8:9]
	global_load_dwordx2 v[22:23], v[12:13], off
	global_load_dwordx2 v[28:29], v[20:21], off
	v_ashrrev_i32_e32 v9, 31, v8
	v_lshlrev_b64 v[6:7], 3, v[8:9]
	v_add_u32_e32 v8, 0x204, v8
	v_add_u32_e32 v12, v2, v40
	v_ashrrev_i32_e32 v9, 31, v8
	v_sub_u32_e32 v18, v2, v3
	v_ashrrev_i32_e32 v13, 31, v12
	v_lshl_add_u64 v[14:15], s[12:13], 0, v[6:7]
	v_lshlrev_b64 v[8:9], 3, v[8:9]
	v_ashrrev_i32_e32 v19, 31, v18
	v_lshl_add_u64 v[12:13], v[12:13], 3, s[12:13]
	v_sub_u32_e32 v39, v37, v40
	v_lshl_add_u64 v[16:17], s[12:13], 0, v[8:9]
	v_lshl_add_u64 v[18:19], v[18:19], 3, s[12:13]
	global_load_dwordx2 v[20:21], v[14:15], off
	global_load_dwordx2 v[30:31], v[16:17], off
	;; [unrolled: 1-line block ×4, first 2 shown]
	v_add_u32_e32 v12, v36, v39
	v_ashrrev_i32_e32 v13, 31, v12
	v_lshlrev_b64 v[12:13], 3, v[12:13]
	v_add_u32_e32 v16, v39, v11
	v_lshl_add_u64 v[14:15], s[6:7], 0, v[12:13]
	v_ashrrev_i32_e32 v17, 31, v16
	v_lshl_add_u64 v[16:17], v[16:17], 3, s[6:7]
	global_load_dwordx2 v[18:19], v[14:15], off
	global_load_dwordx2 v[36:37], v[16:17], off
	v_add_u32_e32 v14, v38, v39
	v_lshl_add_u64 v[12:13], s[8:9], 0, v[12:13]
	v_ashrrev_i32_e32 v15, 31, v14
	v_lshl_add_u64 v[14:15], v[14:15], 3, s[8:9]
	global_load_dwordx2 v[16:17], v[12:13], off
	global_load_dwordx2 v[38:39], v[14:15], off
	v_lshl_add_u64 v[4:5], s[12:13], 0, v[4:5]
	v_sub_u32_e32 v12, v2, v40
	v_add_u32_e32 v2, v2, v3
	global_load_dwordx2 v[4:5], v[4:5], off
	v_lshl_add_u64 v[8:9], s[10:11], 0, v[8:9]
	v_ashrrev_i32_e32 v13, 31, v12
	v_ashrrev_i32_e32 v3, 31, v2
	v_lshl_add_u64 v[6:7], s[10:11], 0, v[6:7]
	v_lshl_add_u64 v[12:13], v[12:13], 3, s[10:11]
	;; [unrolled: 1-line block ×3, first 2 shown]
	global_load_dwordx2 v[14:15], v[8:9], off
	global_load_dwordx2 v[40:41], v[6:7], off
	global_load_dwordx2 v[42:43], v[2:3], off
	global_load_dwordx2 v[44:45], v[12:13], off
	s_waitcnt vmcnt(15)
	v_add_f64 v[2:3], v[24:25], -v[26:27]
	s_waitcnt vmcnt(13)
	v_add_f64 v[6:7], v[22:23], -v[28:29]
	v_ldexp_f64 v[6:7], v[6:7], 9
	v_fmac_f64_e32 v[6:7], 0x40800000, v[2:3]
	v_div_scale_f64 v[2:3], s[6:7], s[4:5], s[4:5], v[6:7]
	v_rcp_f64_e32 v[8:9], v[2:3]
	v_div_scale_f64 v[12:13], vcc, v[6:7], s[4:5], v[6:7]
	v_fma_f64 v[22:23], -v[2:3], v[8:9], 1.0
	v_fmac_f64_e32 v[8:9], v[8:9], v[22:23]
	v_fma_f64 v[22:23], -v[2:3], v[8:9], 1.0
	v_fmac_f64_e32 v[8:9], v[8:9], v[22:23]
	v_mul_f64 v[22:23], v[12:13], v[8:9]
	v_fma_f64 v[2:3], -v[2:3], v[22:23], v[12:13]
	v_div_fmas_f64 v[2:3], v[2:3], v[8:9], v[22:23]
	s_waitcnt vmcnt(9)
	v_fmac_f64_e32 v[34:35], -2.0, v[0:1]
	v_fmac_f64_e32 v[30:31], -2.0, v[0:1]
	v_add_f64 v[0:1], v[32:33], v[34:35]
	v_div_fixup_f64 v[2:3], v[2:3], s[4:5], v[6:7]
	v_add_f64 v[6:7], v[20:21], v[30:31]
	v_ldexp_f64 v[0:1], v[0:1], 18
	v_fmac_f64_e32 v[0:1], 0x41100000, v[6:7]
	s_waitcnt vmcnt(7)
	v_add_f64 v[8:9], v[18:19], -v[36:37]
	v_add_f64 v[0:1], v[0:1], -v[2:3]
	s_waitcnt vmcnt(5)
	v_add_f64 v[12:13], v[16:17], -v[38:39]
	v_ldexp_f64 v[12:13], v[12:13], 9
	v_fmac_f64_e32 v[12:13], 0x40800000, v[8:9]
	v_div_scale_f64 v[8:9], s[6:7], s[4:5], s[4:5], v[12:13]
	v_rcp_f64_e32 v[16:17], v[8:9]
	s_waitcnt vmcnt(3)
	v_fmac_f64_e32 v[14:15], -2.0, v[4:5]
	v_fma_f64 v[2:3], -v[8:9], v[16:17], 1.0
	v_fmac_f64_e32 v[16:17], v[16:17], v[2:3]
	v_fma_f64 v[2:3], -v[8:9], v[16:17], 1.0
	v_fmac_f64_e32 v[16:17], v[16:17], v[2:3]
	v_div_scale_f64 v[2:3], vcc, v[12:13], s[4:5], v[12:13]
	v_mul_f64 v[6:7], v[2:3], v[16:17]
	s_waitcnt vmcnt(1)
	v_fmac_f64_e32 v[42:43], -2.0, v[4:5]
	v_fma_f64 v[2:3], -v[8:9], v[6:7], v[2:3]
	s_waitcnt vmcnt(0)
	v_add_f64 v[4:5], v[44:45], v[42:43]
	v_div_fmas_f64 v[2:3], v[2:3], v[16:17], v[6:7]
	v_add_f64 v[6:7], v[40:41], v[14:15]
	v_ldexp_f64 v[4:5], v[4:5], 18
	v_div_fixup_f64 v[2:3], v[2:3], s[4:5], v[12:13]
	v_fmac_f64_e32 v[4:5], 0x41100000, v[6:7]
	v_add_f64 v[2:3], v[4:5], -v[2:3]
	v_mul_f64 v[2:3], v[2:3], v[2:3]
	v_fmac_f64_e32 v[2:3], v[0:1], v[0:1]
	v_lshlrev_b32_e32 v0, 3, v10
	v_cmp_gt_u32_e32 vcc, 64, v10
	ds_write_b64 v0, v[2:3]
	s_waitcnt lgkmcnt(0)
	s_barrier
	s_and_saveexec_b64 s[4:5], vcc
	s_cbranch_execz .LBB8_2
; %bb.1:
	ds_read2st64_b64 v[2:5], v0 offset1:1
	s_waitcnt lgkmcnt(0)
	v_add_f64 v[2:3], v[4:5], v[2:3]
	ds_write_b64 v0, v[2:3]
.LBB8_2:
	s_or_b64 exec, exec, s[4:5]
	v_cmp_gt_u32_e32 vcc, 32, v10
	s_waitcnt lgkmcnt(0)
	s_barrier
	s_and_saveexec_b64 s[4:5], vcc
	s_cbranch_execz .LBB8_4
; %bb.3:
	ds_read2_b64 v[2:5], v0 offset1:32
	s_waitcnt lgkmcnt(0)
	v_add_f64 v[2:3], v[4:5], v[2:3]
	ds_write_b64 v0, v[2:3]
.LBB8_4:
	s_or_b64 exec, exec, s[4:5]
	v_cmp_gt_u32_e32 vcc, 16, v10
	s_waitcnt lgkmcnt(0)
	s_barrier
	s_and_saveexec_b64 s[4:5], vcc
	s_cbranch_execz .LBB8_6
; %bb.5:
	ds_read2_b64 v[2:5], v0 offset1:16
	s_waitcnt lgkmcnt(0)
	v_add_f64 v[2:3], v[4:5], v[2:3]
	ds_write_b64 v0, v[2:3]
.LBB8_6:
	s_or_b64 exec, exec, s[4:5]
	v_cmp_gt_u32_e32 vcc, 8, v10
	s_waitcnt lgkmcnt(0)
	s_barrier
	s_and_saveexec_b64 s[4:5], vcc
	s_cbranch_execz .LBB8_8
; %bb.7:
	ds_read2_b64 v[2:5], v0 offset1:8
	s_waitcnt lgkmcnt(0)
	v_add_f64 v[2:3], v[4:5], v[2:3]
	ds_write_b64 v0, v[2:3]
.LBB8_8:
	s_or_b64 exec, exec, s[4:5]
	v_cmp_gt_u32_e32 vcc, 4, v10
	s_waitcnt lgkmcnt(0)
	s_barrier
	s_and_saveexec_b64 s[4:5], vcc
	s_cbranch_execz .LBB8_10
; %bb.9:
	ds_read2_b64 v[2:5], v0 offset1:4
	s_waitcnt lgkmcnt(0)
	v_add_f64 v[2:3], v[4:5], v[2:3]
	ds_write_b64 v0, v[2:3]
.LBB8_10:
	s_or_b64 exec, exec, s[4:5]
	v_cmp_gt_u32_e32 vcc, 2, v10
	s_waitcnt lgkmcnt(0)
	s_barrier
	s_and_saveexec_b64 s[4:5], vcc
	s_cbranch_execz .LBB8_12
; %bb.11:
	ds_read2_b64 v[2:5], v0 offset1:2
	s_waitcnt lgkmcnt(0)
	v_add_f64 v[2:3], v[4:5], v[2:3]
	ds_write_b64 v0, v[2:3]
.LBB8_12:
	s_or_b64 exec, exec, s[4:5]
	v_cmp_eq_u32_e32 vcc, 0, v10
	s_waitcnt lgkmcnt(0)
	s_barrier
	s_and_saveexec_b64 s[4:5], vcc
	s_cbranch_execz .LBB8_14
; %bb.13:
	ds_read2_b64 v[2:5], v0 offset1:1
	s_waitcnt lgkmcnt(0)
	v_add_f64 v[2:3], v[4:5], v[2:3]
	ds_write_b64 v0, v[2:3]
.LBB8_14:
	s_or_b64 exec, exec, s[4:5]
	s_waitcnt lgkmcnt(0)
	s_barrier
	s_and_saveexec_b64 s[4:5], vcc
	s_cbranch_execz .LBB8_16
; %bb.15:
	s_load_dwordx2 s[0:1], s[0:1], 0x28
	v_mov_b32_e32 v2, 0
	s_mul_i32 s2, s14, s2
	ds_read_b64 v[0:1], v2
	s_add_i32 s2, s2, s3
	s_mov_b32 s3, 0
	s_lshl_b64 s[2:3], s[2:3], 3
	s_waitcnt lgkmcnt(0)
	s_add_u32 s0, s0, s2
	s_addc_u32 s1, s1, s3
	global_store_dwordx2 v2, v[0:1], s[0:1]
.LBB8_16:
	s_endpgm
	.section	.rodata,"a",@progbits
	.p2align	6, 0x0
	.amdhsa_kernel _Z13calc_residualdPKdS0_S0_S0_Pd
		.amdhsa_group_segment_fixed_size 1024
		.amdhsa_private_segment_fixed_size 0
		.amdhsa_kernarg_size 304
		.amdhsa_user_sgpr_count 2
		.amdhsa_user_sgpr_dispatch_ptr 0
		.amdhsa_user_sgpr_queue_ptr 0
		.amdhsa_user_sgpr_kernarg_segment_ptr 1
		.amdhsa_user_sgpr_dispatch_id 0
		.amdhsa_user_sgpr_kernarg_preload_length 0
		.amdhsa_user_sgpr_kernarg_preload_offset 0
		.amdhsa_user_sgpr_private_segment_size 0
		.amdhsa_uses_dynamic_stack 0
		.amdhsa_enable_private_segment 0
		.amdhsa_system_sgpr_workgroup_id_x 1
		.amdhsa_system_sgpr_workgroup_id_y 1
		.amdhsa_system_sgpr_workgroup_id_z 0
		.amdhsa_system_sgpr_workgroup_info 0
		.amdhsa_system_vgpr_workitem_id 1
		.amdhsa_next_free_vgpr 46
		.amdhsa_next_free_sgpr 18
		.amdhsa_accum_offset 48
		.amdhsa_reserve_vcc 1
		.amdhsa_float_round_mode_32 0
		.amdhsa_float_round_mode_16_64 0
		.amdhsa_float_denorm_mode_32 3
		.amdhsa_float_denorm_mode_16_64 3
		.amdhsa_dx10_clamp 1
		.amdhsa_ieee_mode 1
		.amdhsa_fp16_overflow 0
		.amdhsa_tg_split 0
		.amdhsa_exception_fp_ieee_invalid_op 0
		.amdhsa_exception_fp_denorm_src 0
		.amdhsa_exception_fp_ieee_div_zero 0
		.amdhsa_exception_fp_ieee_overflow 0
		.amdhsa_exception_fp_ieee_underflow 0
		.amdhsa_exception_fp_ieee_inexact 0
		.amdhsa_exception_int_div_zero 0
	.end_amdhsa_kernel
	.text
.Lfunc_end8:
	.size	_Z13calc_residualdPKdS0_S0_S0_Pd, .Lfunc_end8-_Z13calc_residualdPKdS0_S0_S0_Pd
                                        ; -- End function
	.set _Z13calc_residualdPKdS0_S0_S0_Pd.num_vgpr, 46
	.set _Z13calc_residualdPKdS0_S0_S0_Pd.num_agpr, 0
	.set _Z13calc_residualdPKdS0_S0_S0_Pd.numbered_sgpr, 18
	.set _Z13calc_residualdPKdS0_S0_S0_Pd.num_named_barrier, 0
	.set _Z13calc_residualdPKdS0_S0_S0_Pd.private_seg_size, 0
	.set _Z13calc_residualdPKdS0_S0_S0_Pd.uses_vcc, 1
	.set _Z13calc_residualdPKdS0_S0_S0_Pd.uses_flat_scratch, 0
	.set _Z13calc_residualdPKdS0_S0_S0_Pd.has_dyn_sized_stack, 0
	.set _Z13calc_residualdPKdS0_S0_S0_Pd.has_recursion, 0
	.set _Z13calc_residualdPKdS0_S0_S0_Pd.has_indirect_call, 0
	.section	.AMDGPU.csdata,"",@progbits
; Kernel info:
; codeLenInByte = 1392
; TotalNumSgprs: 24
; NumVgprs: 46
; NumAgprs: 0
; TotalNumVgprs: 46
; ScratchSize: 0
; MemoryBound: 0
; FloatMode: 240
; IeeeMode: 1
; LDSByteSize: 1024 bytes/workgroup (compile time only)
; SGPRBlocks: 2
; VGPRBlocks: 5
; NumSGPRsForWavesPerEU: 24
; NumVGPRsForWavesPerEU: 46
; AccumOffset: 48
; Occupancy: 8
; WaveLimiterHint : 0
; COMPUTE_PGM_RSRC2:SCRATCH_EN: 0
; COMPUTE_PGM_RSRC2:USER_SGPR: 2
; COMPUTE_PGM_RSRC2:TRAP_HANDLER: 0
; COMPUTE_PGM_RSRC2:TGID_X_EN: 1
; COMPUTE_PGM_RSRC2:TGID_Y_EN: 1
; COMPUTE_PGM_RSRC2:TGID_Z_EN: 0
; COMPUTE_PGM_RSRC2:TIDIG_COMP_CNT: 1
; COMPUTE_PGM_RSRC3_GFX90A:ACCUM_OFFSET: 11
; COMPUTE_PGM_RSRC3_GFX90A:TG_SPLIT: 0
	.text
	.protected	_Z11calculate_udPKdS0_S0_PdS1_ ; -- Begin function _Z11calculate_udPKdS0_S0_PdS1_
	.globl	_Z11calculate_udPKdS0_S0_PdS1_
	.p2align	8
	.type	_Z11calculate_udPKdS0_S0_PdS1_,@function
_Z11calculate_udPKdS0_S0_PdS1_:         ; @_Z11calculate_udPKdS0_S0_PdS1_
; %bb.0:
	s_load_dword s4, s[0:1], 0x3c
	s_load_dwordx2 s[12:13], s[0:1], 0x20
	s_load_dword s16, s[0:1], 0x34
	v_and_b32_e32 v3, 0x3ff, v0
	v_bfe_u32 v0, v0, 10, 10
	s_waitcnt lgkmcnt(0)
	s_lshr_b32 s5, s4, 16
	s_and_b32 s4, s4, 0xffff
	s_mul_i32 s4, s2, s4
	v_add3_u32 v2, v3, s4, 1
	s_mul_i32 s4, s3, s5
	v_add_u32_e32 v1, s4, v0
	v_add_u32_e32 v5, 1, v1
	s_movk_i32 s4, 0x200
	v_cmp_ne_u32_e32 vcc, s4, v5
	v_lshlrev_b32_e32 v0, 1, v2
                                        ; implicit-def: $vgpr6_vgpr7
	s_and_saveexec_b64 s[4:5], vcc
	s_xor_b64 s[14:15], exec, s[4:5]
	s_cbranch_execz .LBB9_4
; %bb.1:
	s_movk_i32 s17, 0x102
	s_load_dwordx8 s[4:11], s[0:1], 0x0
	v_mad_u64_u32 v[6:7], s[18:19], v5, s17, v[2:3]
	v_mul_lo_u32 v4, v1, s17
	s_movk_i32 s17, 0x204
	v_add3_u32 v10, v2, v4, s17
	s_movk_i32 s17, 0x202
	v_mul_lo_u32 v4, v5, s17
	v_and_b32_e32 v5, 1, v5
	v_and_b32_e32 v1, 1, v1
	v_ashrrev_i32_e32 v7, 31, v6
	v_ashrrev_i32_e32 v11, 31, v10
	v_sub_u32_e32 v5, v0, v5
	v_sub_u32_e32 v0, v0, v1
	v_lshlrev_b64 v[6:7], 3, v[6:7]
	v_lshlrev_b64 v[10:11], 3, v[10:11]
	v_add_u32_e32 v14, v5, v4
	v_add_u32_e32 v0, v0, v4
	s_waitcnt lgkmcnt(0)
	v_lshl_add_u64 v[8:9], s[8:9], 0, v[6:7]
	v_lshl_add_u64 v[12:13], s[10:11], 0, v[10:11]
	v_ashrrev_i32_e32 v15, 31, v14
	v_lshl_add_u64 v[6:7], s[10:11], 0, v[6:7]
	v_lshl_add_u64 v[10:11], s[8:9], 0, v[10:11]
	v_ashrrev_i32_e32 v1, 31, v0
	global_load_dwordx2 v[8:9], v[8:9], off
	v_lshlrev_b64 v[14:15], 3, v[14:15]
	global_load_dwordx2 v[12:13], v[12:13], off
	v_lshlrev_b64 v[0:1], 3, v[0:1]
	global_load_dwordx2 v[6:7], v[6:7], off
	v_lshl_add_u64 v[16:17], s[6:7], 0, v[14:15]
	global_load_dwordx2 v[10:11], v[10:11], off
	v_lshl_add_u64 v[18:19], s[6:7], 0, v[0:1]
	global_load_dwordx2 v[16:17], v[16:17], off
	s_movk_i32 s6, 0x100
	global_load_dwordx2 v[18:19], v[18:19], off
	v_lshl_add_u64 v[14:15], s[12:13], 0, v[14:15]
	v_cmp_eq_u32_e32 vcc, s6, v2
	v_lshl_add_u64 v[0:1], s[12:13], 0, v[0:1]
	s_waitcnt vmcnt(4)
	v_add_f64 v[8:9], v[12:13], -v[8:9]
	v_mul_f64 v[8:9], s[4:5], v[8:9]
	s_waitcnt vmcnt(2)
	v_add_f64 v[6:7], v[10:11], -v[6:7]
	v_mul_f64 v[6:7], s[4:5], v[6:7]
	s_waitcnt vmcnt(1)
	v_fmac_f64_e32 v[16:17], 0xc0800000, v[8:9]
	s_waitcnt vmcnt(0)
	v_fmac_f64_e32 v[18:19], 0xc0800000, v[6:7]
	v_max_f64 v[6:7], |v[16:17]|, |v[18:19]|
	global_store_dwordx2 v[14:15], v[16:17], off
	global_store_dwordx2 v[0:1], v[18:19], off
	s_and_saveexec_b64 s[4:5], vcc
	s_cbranch_execz .LBB9_3
; %bb.2:
	v_ashrrev_i32_e32 v5, 31, v4
	v_lshl_add_u64 v[0:1], v[4:5], 3, s[12:13]
	v_add_co_u32_e32 v0, vcc, 0x1000, v0
	v_max_f64 v[4:5], v[6:7], v[6:7]
	s_nop 0
	v_addc_co_u32_e32 v1, vcc, 0, v1, vcc
	global_load_dwordx2 v[0:1], v[0:1], off offset:8
	s_waitcnt vmcnt(0)
	v_max_f64 v[0:1], |v[0:1]|, |v[0:1]|
	v_max_f64 v[6:7], v[4:5], v[0:1]
.LBB9_3:
	s_or_b64 exec, exec, s[4:5]
                                        ; implicit-def: $vgpr0
.LBB9_4:
	s_andn2_saveexec_b64 s[4:5], s[14:15]
	s_cbranch_execz .LBB9_6
; %bb.5:
	v_ashrrev_i32_e32 v1, 31, v0
	v_lshl_add_u64 v[0:1], v[0:1], 3, s[12:13]
	v_add_co_u32_e32 v12, vcc, 0x201000, v0
	s_nop 1
	v_addc_co_u32_e32 v13, vcc, 0, v1, vcc
	global_load_dwordx4 v[4:7], v[12:13], off offset:4088
	global_load_dwordx4 v[8:11], v[0:1], off offset:-8
	v_add_co_u32_e32 v0, vcc, 0x203000, v0
	s_waitcnt vmcnt(1)
	v_max_f64 v[4:5], |v[4:5]|, |v[4:5]|
	v_addc_co_u32_e32 v1, vcc, 0, v1, vcc
	global_load_dwordx4 v[12:15], v[0:1], off offset:8
	v_max_f64 v[0:1], |v[6:7]|, |v[6:7]|
	s_waitcnt vmcnt(1)
	v_max_f64 v[6:7], |v[10:11]|, |v[10:11]|
	v_max_f64 v[0:1], v[0:1], v[6:7]
	v_max_f64 v[8:9], |v[8:9]|, |v[8:9]|
	v_max_f64 v[0:1], v[4:5], v[0:1]
	v_max_f64 v[0:1], v[8:9], v[0:1]
	s_waitcnt vmcnt(0)
	v_max_f64 v[6:7], |v[14:15]|, |v[14:15]|
	v_max_f64 v[0:1], v[6:7], v[0:1]
	v_max_f64 v[4:5], |v[12:13]|, |v[12:13]|
	v_max_f64 v[6:7], v[4:5], v[0:1]
.LBB9_6:
	s_or_b64 exec, exec, s[4:5]
	v_lshlrev_b32_e32 v0, 3, v3
	v_cmp_gt_u32_e32 vcc, 64, v3
	ds_write_b64 v0, v[6:7]
	s_waitcnt lgkmcnt(0)
	s_barrier
	s_and_saveexec_b64 s[4:5], vcc
	s_cbranch_execz .LBB9_8
; %bb.7:
	ds_read2st64_b64 v[4:7], v0 offset1:1
	s_waitcnt lgkmcnt(0)
	v_max_f64 v[6:7], v[6:7], v[6:7]
	v_max_f64 v[4:5], v[4:5], v[4:5]
	;; [unrolled: 1-line block ×3, first 2 shown]
	ds_write_b64 v0, v[4:5]
.LBB9_8:
	s_or_b64 exec, exec, s[4:5]
	v_cmp_gt_u32_e32 vcc, 32, v3
	s_waitcnt lgkmcnt(0)
	s_barrier
	s_and_saveexec_b64 s[4:5], vcc
	s_cbranch_execz .LBB9_10
; %bb.9:
	ds_read2_b64 v[4:7], v0 offset1:32
	s_waitcnt lgkmcnt(0)
	v_max_f64 v[6:7], v[6:7], v[6:7]
	v_max_f64 v[4:5], v[4:5], v[4:5]
	v_max_f64 v[4:5], v[4:5], v[6:7]
	ds_write_b64 v0, v[4:5]
.LBB9_10:
	s_or_b64 exec, exec, s[4:5]
	v_cmp_gt_u32_e32 vcc, 16, v3
	s_waitcnt lgkmcnt(0)
	s_barrier
	s_and_saveexec_b64 s[4:5], vcc
	s_cbranch_execz .LBB9_12
; %bb.11:
	ds_read2_b64 v[4:7], v0 offset1:16
	s_waitcnt lgkmcnt(0)
	v_max_f64 v[6:7], v[6:7], v[6:7]
	v_max_f64 v[4:5], v[4:5], v[4:5]
	v_max_f64 v[4:5], v[4:5], v[6:7]
	ds_write_b64 v0, v[4:5]
.LBB9_12:
	;; [unrolled: 14-line block ×5, first 2 shown]
	s_or_b64 exec, exec, s[4:5]
	v_cmp_eq_u32_e32 vcc, 0, v3
	s_waitcnt lgkmcnt(0)
	s_barrier
	s_and_saveexec_b64 s[4:5], vcc
	s_cbranch_execz .LBB9_20
; %bb.19:
	ds_read2_b64 v[2:5], v0 offset1:1
	s_waitcnt lgkmcnt(0)
	v_max_f64 v[4:5], v[4:5], v[4:5]
	v_max_f64 v[2:3], v[2:3], v[2:3]
	;; [unrolled: 1-line block ×3, first 2 shown]
	ds_write_b64 v0, v[2:3]
.LBB9_20:
	s_or_b64 exec, exec, s[4:5]
	s_waitcnt lgkmcnt(0)
	s_barrier
	s_and_saveexec_b64 s[4:5], vcc
	s_cbranch_execz .LBB9_22
; %bb.21:
	s_load_dwordx2 s[0:1], s[0:1], 0x28
	v_mov_b32_e32 v2, 0
	s_mul_i32 s2, s16, s2
	ds_read_b64 v[0:1], v2
	s_add_i32 s2, s2, s3
	s_mov_b32 s3, 0
	s_lshl_b64 s[2:3], s[2:3], 3
	s_waitcnt lgkmcnt(0)
	s_add_u32 s0, s0, s2
	s_addc_u32 s1, s1, s3
	global_store_dwordx2 v2, v[0:1], s[0:1]
.LBB9_22:
	s_endpgm
	.section	.rodata,"a",@progbits
	.p2align	6, 0x0
	.amdhsa_kernel _Z11calculate_udPKdS0_S0_PdS1_
		.amdhsa_group_segment_fixed_size 1024
		.amdhsa_private_segment_fixed_size 0
		.amdhsa_kernarg_size 304
		.amdhsa_user_sgpr_count 2
		.amdhsa_user_sgpr_dispatch_ptr 0
		.amdhsa_user_sgpr_queue_ptr 0
		.amdhsa_user_sgpr_kernarg_segment_ptr 1
		.amdhsa_user_sgpr_dispatch_id 0
		.amdhsa_user_sgpr_kernarg_preload_length 0
		.amdhsa_user_sgpr_kernarg_preload_offset 0
		.amdhsa_user_sgpr_private_segment_size 0
		.amdhsa_uses_dynamic_stack 0
		.amdhsa_enable_private_segment 0
		.amdhsa_system_sgpr_workgroup_id_x 1
		.amdhsa_system_sgpr_workgroup_id_y 1
		.amdhsa_system_sgpr_workgroup_id_z 0
		.amdhsa_system_sgpr_workgroup_info 0
		.amdhsa_system_vgpr_workitem_id 1
		.amdhsa_next_free_vgpr 20
		.amdhsa_next_free_sgpr 20
		.amdhsa_accum_offset 20
		.amdhsa_reserve_vcc 1
		.amdhsa_float_round_mode_32 0
		.amdhsa_float_round_mode_16_64 0
		.amdhsa_float_denorm_mode_32 3
		.amdhsa_float_denorm_mode_16_64 3
		.amdhsa_dx10_clamp 1
		.amdhsa_ieee_mode 1
		.amdhsa_fp16_overflow 0
		.amdhsa_tg_split 0
		.amdhsa_exception_fp_ieee_invalid_op 0
		.amdhsa_exception_fp_denorm_src 0
		.amdhsa_exception_fp_ieee_div_zero 0
		.amdhsa_exception_fp_ieee_overflow 0
		.amdhsa_exception_fp_ieee_underflow 0
		.amdhsa_exception_fp_ieee_inexact 0
		.amdhsa_exception_int_div_zero 0
	.end_amdhsa_kernel
	.text
.Lfunc_end9:
	.size	_Z11calculate_udPKdS0_S0_PdS1_, .Lfunc_end9-_Z11calculate_udPKdS0_S0_PdS1_
                                        ; -- End function
	.set _Z11calculate_udPKdS0_S0_PdS1_.num_vgpr, 20
	.set _Z11calculate_udPKdS0_S0_PdS1_.num_agpr, 0
	.set _Z11calculate_udPKdS0_S0_PdS1_.numbered_sgpr, 20
	.set _Z11calculate_udPKdS0_S0_PdS1_.num_named_barrier, 0
	.set _Z11calculate_udPKdS0_S0_PdS1_.private_seg_size, 0
	.set _Z11calculate_udPKdS0_S0_PdS1_.uses_vcc, 1
	.set _Z11calculate_udPKdS0_S0_PdS1_.uses_flat_scratch, 0
	.set _Z11calculate_udPKdS0_S0_PdS1_.has_dyn_sized_stack, 0
	.set _Z11calculate_udPKdS0_S0_PdS1_.has_recursion, 0
	.set _Z11calculate_udPKdS0_S0_PdS1_.has_indirect_call, 0
	.section	.AMDGPU.csdata,"",@progbits
; Kernel info:
; codeLenInByte = 1256
; TotalNumSgprs: 26
; NumVgprs: 20
; NumAgprs: 0
; TotalNumVgprs: 20
; ScratchSize: 0
; MemoryBound: 0
; FloatMode: 240
; IeeeMode: 1
; LDSByteSize: 1024 bytes/workgroup (compile time only)
; SGPRBlocks: 3
; VGPRBlocks: 2
; NumSGPRsForWavesPerEU: 26
; NumVGPRsForWavesPerEU: 20
; AccumOffset: 20
; Occupancy: 8
; WaveLimiterHint : 1
; COMPUTE_PGM_RSRC2:SCRATCH_EN: 0
; COMPUTE_PGM_RSRC2:USER_SGPR: 2
; COMPUTE_PGM_RSRC2:TRAP_HANDLER: 0
; COMPUTE_PGM_RSRC2:TGID_X_EN: 1
; COMPUTE_PGM_RSRC2:TGID_Y_EN: 1
; COMPUTE_PGM_RSRC2:TGID_Z_EN: 0
; COMPUTE_PGM_RSRC2:TIDIG_COMP_CNT: 1
; COMPUTE_PGM_RSRC3_GFX90A:ACCUM_OFFSET: 4
; COMPUTE_PGM_RSRC3_GFX90A:TG_SPLIT: 0
	.text
	.protected	_Z11calculate_vdPKdS0_S0_PdS1_ ; -- Begin function _Z11calculate_vdPKdS0_S0_PdS1_
	.globl	_Z11calculate_vdPKdS0_S0_PdS1_
	.p2align	8
	.type	_Z11calculate_vdPKdS0_S0_PdS1_,@function
_Z11calculate_vdPKdS0_S0_PdS1_:         ; @_Z11calculate_vdPKdS0_S0_PdS1_
; %bb.0:
	s_load_dword s14, s[0:1], 0x3c
	s_load_dwordx2 s[12:13], s[0:1], 0x20
	s_load_dword s18, s[0:1], 0x34
	s_load_dwordx8 s[4:11], s[0:1], 0x0
	v_and_b32_e32 v5, 0x3ff, v0
	s_waitcnt lgkmcnt(0)
	s_lshr_b32 s15, s14, 16
	s_and_b32 s14, s14, 0xffff
	s_mul_i32 s14, s2, s14
	v_add3_u32 v4, v5, s14, 1
	s_mul_i32 s14, s3, s15
	v_bfe_u32 v0, v0, 10, 10
	v_add_u32_e32 v0, s14, v0
	s_movk_i32 s14, 0x100
	v_add_u32_e32 v1, 1, v0
	v_cmp_ne_u32_e32 vcc, s14, v4
	v_and_b32_e32 v6, 1, v0
                                        ; implicit-def: $vgpr2_vgpr3
	s_and_saveexec_b64 s[14:15], vcc
	s_xor_b64 s[14:15], exec, s[14:15]
	s_cbranch_execz .LBB10_4
; %bb.1:
	s_movk_i32 s16, 0x102
	v_mad_u64_u32 v[2:3], s[16:17], v1, s16, v[4:5]
	v_ashrrev_i32_e32 v3, 31, v2
	v_lshlrev_b64 v[8:9], 3, v[2:3]
	s_movk_i32 s16, 0x202
	v_lshlrev_b32_e32 v0, 1, v4
	v_and_b32_e32 v3, 1, v1
	v_mul_lo_u32 v7, v1, s16
	v_sub_u32_e32 v4, v0, v3
	v_add_u32_e32 v12, v2, v6
	v_add_u32_e32 v14, v4, v7
	;; [unrolled: 1-line block ×3, first 2 shown]
	v_sub_u32_e32 v4, v0, v6
	v_ashrrev_i32_e32 v13, 31, v12
	v_ashrrev_i32_e32 v3, 31, v2
	v_add_u32_e32 v6, v4, v7
	v_lshl_add_u64 v[10:11], s[8:9], 0, v[8:9]
	v_lshl_add_u64 v[12:13], v[12:13], 3, s[10:11]
	v_ashrrev_i32_e32 v15, 31, v14
	v_lshl_add_u64 v[8:9], s[10:11], 0, v[8:9]
	v_lshl_add_u64 v[2:3], v[2:3], 3, s[8:9]
	v_ashrrev_i32_e32 v7, 31, v6
	global_load_dwordx2 v[10:11], v[10:11], off
	v_lshlrev_b64 v[14:15], 3, v[14:15]
	global_load_dwordx2 v[12:13], v[12:13], off
	v_lshlrev_b64 v[6:7], 3, v[6:7]
	global_load_dwordx2 v[8:9], v[8:9], off
	v_lshl_add_u64 v[16:17], s[6:7], 0, v[14:15]
	global_load_dwordx2 v[2:3], v[2:3], off
	v_lshl_add_u64 v[18:19], s[6:7], 0, v[6:7]
	global_load_dwordx2 v[16:17], v[16:17], off
	s_movk_i32 s16, 0x200
	global_load_dwordx2 v[18:19], v[18:19], off
	v_lshl_add_u64 v[14:15], s[12:13], 0, v[14:15]
	v_cmp_eq_u32_e32 vcc, s16, v1
	v_lshl_add_u64 v[6:7], s[12:13], 0, v[6:7]
	s_waitcnt vmcnt(4)
	v_add_f64 v[10:11], v[12:13], -v[10:11]
	s_waitcnt vmcnt(2)
	v_add_f64 v[2:3], v[2:3], -v[8:9]
	v_mul_f64 v[8:9], s[4:5], v[10:11]
	v_mul_f64 v[2:3], s[4:5], v[2:3]
	s_waitcnt vmcnt(1)
	v_fmac_f64_e32 v[16:17], 0xc0800000, v[8:9]
	s_waitcnt vmcnt(0)
	v_fmac_f64_e32 v[18:19], 0xc0800000, v[2:3]
	v_max_f64 v[2:3], |v[16:17]|, |v[18:19]|
	global_store_dwordx2 v[14:15], v[16:17], off
	global_store_dwordx2 v[6:7], v[18:19], off
	s_and_saveexec_b64 s[16:17], vcc
	s_cbranch_execz .LBB10_3
; %bb.2:
	v_ashrrev_i32_e32 v1, 31, v0
	v_lshl_add_u64 v[0:1], v[0:1], 3, s[12:13]
	v_add_co_u32_e32 v0, vcc, 0x203000, v0
	v_max_f64 v[2:3], v[2:3], v[2:3]
	s_nop 0
	v_addc_co_u32_e32 v1, vcc, 0, v1, vcc
	global_load_dwordx2 v[0:1], v[0:1], off offset:16
	s_waitcnt vmcnt(0)
	v_max_f64 v[0:1], |v[0:1]|, |v[0:1]|
	v_max_f64 v[2:3], v[2:3], v[0:1]
.LBB10_3:
	s_or_b64 exec, exec, s[16:17]
                                        ; implicit-def: $vgpr6
                                        ; implicit-def: $vgpr1
.LBB10_4:
	s_andn2_saveexec_b64 s[14:15], s[14:15]
	s_cbranch_execz .LBB10_6
; %bb.5:
	s_movk_i32 s16, 0x102
	v_mul_lo_u32 v2, v1, s16
	s_movk_i32 s16, 0x202
	v_mul_lo_u32 v0, v1, s16
	v_ashrrev_i32_e32 v1, 31, v0
	v_ashrrev_i32_e32 v3, 31, v2
	v_lshlrev_b64 v[0:1], 3, v[0:1]
	v_mov_b32_e32 v4, s11
	v_mov_b32_e32 v7, s9
	v_cmp_eq_u32_e32 vcc, 0, v6
	v_mov_b32_e32 v6, s10
	v_mov_b32_e32 v12, s8
	v_lshl_add_u64 v[8:9], s[6:7], 0, v[0:1]
	v_lshl_add_u64 v[10:11], s[12:13], 0, v[0:1]
	v_cndmask_b32_e32 v1, v4, v7, vcc
	v_cndmask_b32_e32 v0, v6, v12, vcc
	v_lshlrev_b64 v[2:3], 3, v[2:3]
	v_cndmask_b32_e32 v7, v7, v4, vcc
	v_cndmask_b32_e32 v6, v12, v6, vcc
	v_lshl_add_u64 v[0:1], v[0:1], 0, v[2:3]
	global_load_dwordx2 v[12:13], v[0:1], off offset:2048
	v_lshl_add_u64 v[0:1], v[6:7], 0, v[2:3]
	global_load_dwordx2 v[6:7], v[0:1], off offset:2048
	v_add_co_u32_e32 v0, vcc, 0x1000, v10
	global_load_dwordx2 v[8:9], v[8:9], off offset:4088
	s_nop 0
	v_addc_co_u32_e32 v1, vcc, 0, v11, vcc
	global_load_dwordx4 v[0:3], v[0:1], off
	s_waitcnt vmcnt(2)
	v_add_f64 v[6:7], v[6:7], -v[12:13]
	global_load_dwordx2 v[14:15], v[10:11], off
	v_mul_f64 v[6:7], s[4:5], v[6:7]
	s_waitcnt vmcnt(2)
	v_fmac_f64_e32 v[8:9], 0xc0800000, v[6:7]
	global_store_dwordx2 v[10:11], v[8:9], off offset:4088
	s_waitcnt vmcnt(2)
	v_max_f64 v[0:1], |v[0:1]|, |v[0:1]|
	v_max_f64 v[0:1], v[0:1], |v[8:9]|
	v_max_f64 v[2:3], |v[2:3]|, |v[2:3]|
	s_waitcnt vmcnt(1)
	v_max_f64 v[12:13], |v[14:15]|, |v[14:15]|
	v_max_f64 v[0:1], v[12:13], v[0:1]
	v_max_f64 v[2:3], v[2:3], v[0:1]
.LBB10_6:
	s_or_b64 exec, exec, s[14:15]
	v_lshlrev_b32_e32 v0, 3, v5
	v_cmp_gt_u32_e32 vcc, 64, v5
	ds_write_b64 v0, v[2:3]
	s_waitcnt lgkmcnt(0)
	s_barrier
	s_and_saveexec_b64 s[4:5], vcc
	s_cbranch_execz .LBB10_8
; %bb.7:
	ds_read2st64_b64 v[6:9], v0 offset1:1
	s_waitcnt lgkmcnt(0)
	v_max_f64 v[2:3], v[8:9], v[8:9]
	v_max_f64 v[6:7], v[6:7], v[6:7]
	;; [unrolled: 1-line block ×3, first 2 shown]
	ds_write_b64 v0, v[2:3]
.LBB10_8:
	s_or_b64 exec, exec, s[4:5]
	v_cmp_gt_u32_e32 vcc, 32, v5
	s_waitcnt lgkmcnt(0)
	s_barrier
	s_and_saveexec_b64 s[4:5], vcc
	s_cbranch_execz .LBB10_10
; %bb.9:
	ds_read2_b64 v[6:9], v0 offset1:32
	s_waitcnt lgkmcnt(0)
	v_max_f64 v[2:3], v[8:9], v[8:9]
	v_max_f64 v[6:7], v[6:7], v[6:7]
	v_max_f64 v[2:3], v[6:7], v[2:3]
	ds_write_b64 v0, v[2:3]
.LBB10_10:
	s_or_b64 exec, exec, s[4:5]
	v_cmp_gt_u32_e32 vcc, 16, v5
	s_waitcnt lgkmcnt(0)
	s_barrier
	s_and_saveexec_b64 s[4:5], vcc
	s_cbranch_execz .LBB10_12
; %bb.11:
	ds_read2_b64 v[6:9], v0 offset1:16
	s_waitcnt lgkmcnt(0)
	v_max_f64 v[2:3], v[8:9], v[8:9]
	v_max_f64 v[6:7], v[6:7], v[6:7]
	v_max_f64 v[2:3], v[6:7], v[2:3]
	ds_write_b64 v0, v[2:3]
.LBB10_12:
	;; [unrolled: 14-line block ×5, first 2 shown]
	s_or_b64 exec, exec, s[4:5]
	v_cmp_eq_u32_e32 vcc, 0, v5
	s_waitcnt lgkmcnt(0)
	s_barrier
	s_and_saveexec_b64 s[4:5], vcc
	s_cbranch_execz .LBB10_20
; %bb.19:
	ds_read2_b64 v[2:5], v0 offset1:1
	s_waitcnt lgkmcnt(0)
	v_max_f64 v[4:5], v[4:5], v[4:5]
	v_max_f64 v[2:3], v[2:3], v[2:3]
	;; [unrolled: 1-line block ×3, first 2 shown]
	ds_write_b64 v0, v[2:3]
.LBB10_20:
	s_or_b64 exec, exec, s[4:5]
	s_waitcnt lgkmcnt(0)
	s_barrier
	s_and_saveexec_b64 s[4:5], vcc
	s_cbranch_execz .LBB10_22
; %bb.21:
	s_load_dwordx2 s[0:1], s[0:1], 0x28
	v_mov_b32_e32 v2, 0
	s_mul_i32 s2, s18, s2
	ds_read_b64 v[0:1], v2
	s_add_i32 s2, s2, s3
	s_mov_b32 s3, 0
	s_lshl_b64 s[2:3], s[2:3], 3
	s_waitcnt lgkmcnt(0)
	s_add_u32 s0, s0, s2
	s_addc_u32 s1, s1, s3
	global_store_dwordx2 v2, v[0:1], s[0:1]
.LBB10_22:
	s_endpgm
	.section	.rodata,"a",@progbits
	.p2align	6, 0x0
	.amdhsa_kernel _Z11calculate_vdPKdS0_S0_PdS1_
		.amdhsa_group_segment_fixed_size 1024
		.amdhsa_private_segment_fixed_size 0
		.amdhsa_kernarg_size 304
		.amdhsa_user_sgpr_count 2
		.amdhsa_user_sgpr_dispatch_ptr 0
		.amdhsa_user_sgpr_queue_ptr 0
		.amdhsa_user_sgpr_kernarg_segment_ptr 1
		.amdhsa_user_sgpr_dispatch_id 0
		.amdhsa_user_sgpr_kernarg_preload_length 0
		.amdhsa_user_sgpr_kernarg_preload_offset 0
		.amdhsa_user_sgpr_private_segment_size 0
		.amdhsa_uses_dynamic_stack 0
		.amdhsa_enable_private_segment 0
		.amdhsa_system_sgpr_workgroup_id_x 1
		.amdhsa_system_sgpr_workgroup_id_y 1
		.amdhsa_system_sgpr_workgroup_id_z 0
		.amdhsa_system_sgpr_workgroup_info 0
		.amdhsa_system_vgpr_workitem_id 1
		.amdhsa_next_free_vgpr 20
		.amdhsa_next_free_sgpr 19
		.amdhsa_accum_offset 20
		.amdhsa_reserve_vcc 1
		.amdhsa_float_round_mode_32 0
		.amdhsa_float_round_mode_16_64 0
		.amdhsa_float_denorm_mode_32 3
		.amdhsa_float_denorm_mode_16_64 3
		.amdhsa_dx10_clamp 1
		.amdhsa_ieee_mode 1
		.amdhsa_fp16_overflow 0
		.amdhsa_tg_split 0
		.amdhsa_exception_fp_ieee_invalid_op 0
		.amdhsa_exception_fp_denorm_src 0
		.amdhsa_exception_fp_ieee_div_zero 0
		.amdhsa_exception_fp_ieee_overflow 0
		.amdhsa_exception_fp_ieee_underflow 0
		.amdhsa_exception_fp_ieee_inexact 0
		.amdhsa_exception_int_div_zero 0
	.end_amdhsa_kernel
	.text
.Lfunc_end10:
	.size	_Z11calculate_vdPKdS0_S0_PdS1_, .Lfunc_end10-_Z11calculate_vdPKdS0_S0_PdS1_
                                        ; -- End function
	.set _Z11calculate_vdPKdS0_S0_PdS1_.num_vgpr, 20
	.set _Z11calculate_vdPKdS0_S0_PdS1_.num_agpr, 0
	.set _Z11calculate_vdPKdS0_S0_PdS1_.numbered_sgpr, 19
	.set _Z11calculate_vdPKdS0_S0_PdS1_.num_named_barrier, 0
	.set _Z11calculate_vdPKdS0_S0_PdS1_.private_seg_size, 0
	.set _Z11calculate_vdPKdS0_S0_PdS1_.uses_vcc, 1
	.set _Z11calculate_vdPKdS0_S0_PdS1_.uses_flat_scratch, 0
	.set _Z11calculate_vdPKdS0_S0_PdS1_.has_dyn_sized_stack, 0
	.set _Z11calculate_vdPKdS0_S0_PdS1_.has_recursion, 0
	.set _Z11calculate_vdPKdS0_S0_PdS1_.has_indirect_call, 0
	.section	.AMDGPU.csdata,"",@progbits
; Kernel info:
; codeLenInByte = 1340
; TotalNumSgprs: 25
; NumVgprs: 20
; NumAgprs: 0
; TotalNumVgprs: 20
; ScratchSize: 0
; MemoryBound: 0
; FloatMode: 240
; IeeeMode: 1
; LDSByteSize: 1024 bytes/workgroup (compile time only)
; SGPRBlocks: 3
; VGPRBlocks: 2
; NumSGPRsForWavesPerEU: 25
; NumVGPRsForWavesPerEU: 20
; AccumOffset: 20
; Occupancy: 8
; WaveLimiterHint : 1
; COMPUTE_PGM_RSRC2:SCRATCH_EN: 0
; COMPUTE_PGM_RSRC2:USER_SGPR: 2
; COMPUTE_PGM_RSRC2:TRAP_HANDLER: 0
; COMPUTE_PGM_RSRC2:TGID_X_EN: 1
; COMPUTE_PGM_RSRC2:TGID_Y_EN: 1
; COMPUTE_PGM_RSRC2:TGID_Z_EN: 0
; COMPUTE_PGM_RSRC2:TIDIG_COMP_CNT: 1
; COMPUTE_PGM_RSRC3_GFX90A:ACCUM_OFFSET: 4
; COMPUTE_PGM_RSRC3_GFX90A:TG_SPLIT: 0
	.text
	.p2alignl 6, 3212836864
	.fill 256, 4, 3212836864
	.section	.AMDGPU.gpr_maximums,"",@progbits
	.set amdgpu.max_num_vgpr, 0
	.set amdgpu.max_num_agpr, 0
	.set amdgpu.max_num_sgpr, 0
	.text
	.type	__hip_cuid_5ee2dac7f8341598,@object ; @__hip_cuid_5ee2dac7f8341598
	.section	.bss,"aw",@nobits
	.globl	__hip_cuid_5ee2dac7f8341598
__hip_cuid_5ee2dac7f8341598:
	.byte	0                               ; 0x0
	.size	__hip_cuid_5ee2dac7f8341598, 1

	.ident	"AMD clang version 22.0.0git (https://github.com/RadeonOpenCompute/llvm-project roc-7.2.4 26084 f58b06dce1f9c15707c5f808fd002e18c2accf7e)"
	.section	".note.GNU-stack","",@progbits
	.addrsig
	.addrsig_sym __hip_cuid_5ee2dac7f8341598
	.amdgpu_metadata
---
amdhsa.kernels:
  - .agpr_count:     0
    .args:
      - .address_space:  global
        .offset:         0
        .size:           8
        .value_kind:     global_buffer
      - .address_space:  global
        .offset:         8
        .size:           8
        .value_kind:     global_buffer
      - .offset:         16
        .size:           4
        .value_kind:     hidden_block_count_x
      - .offset:         20
        .size:           4
        .value_kind:     hidden_block_count_y
      - .offset:         24
        .size:           4
        .value_kind:     hidden_block_count_z
      - .offset:         28
        .size:           2
        .value_kind:     hidden_group_size_x
      - .offset:         30
        .size:           2
        .value_kind:     hidden_group_size_y
      - .offset:         32
        .size:           2
        .value_kind:     hidden_group_size_z
      - .offset:         34
        .size:           2
        .value_kind:     hidden_remainder_x
      - .offset:         36
        .size:           2
        .value_kind:     hidden_remainder_y
      - .offset:         38
        .size:           2
        .value_kind:     hidden_remainder_z
      - .offset:         56
        .size:           8
        .value_kind:     hidden_global_offset_x
      - .offset:         64
        .size:           8
        .value_kind:     hidden_global_offset_y
      - .offset:         72
        .size:           8
        .value_kind:     hidden_global_offset_z
      - .offset:         80
        .size:           2
        .value_kind:     hidden_grid_dims
    .group_segment_fixed_size: 0
    .kernarg_segment_align: 8
    .kernarg_segment_size: 272
    .language:       OpenCL C
    .language_version:
      - 2
      - 0
    .max_flat_workgroup_size: 1024
    .name:           _Z7set_BCsPdS_
    .private_segment_fixed_size: 0
    .sgpr_count:     14
    .sgpr_spill_count: 0
    .symbol:         _Z7set_BCsPdS_.kd
    .uniform_work_group_size: 1
    .uses_dynamic_stack: false
    .vgpr_count:     26
    .vgpr_spill_count: 0
    .wavefront_size: 64
  - .agpr_count:     0
    .args:
      - .offset:         0
        .size:           8
        .value_kind:     by_value
      - .actual_access:  read_only
        .address_space:  global
        .offset:         8
        .size:           8
        .value_kind:     global_buffer
      - .actual_access:  read_only
        .address_space:  global
        .offset:         16
        .size:           8
        .value_kind:     global_buffer
      - .actual_access:  write_only
        .address_space:  global
        .offset:         24
        .size:           8
        .value_kind:     global_buffer
      - .offset:         32
        .size:           4
        .value_kind:     hidden_block_count_x
      - .offset:         36
        .size:           4
        .value_kind:     hidden_block_count_y
      - .offset:         40
        .size:           4
        .value_kind:     hidden_block_count_z
      - .offset:         44
        .size:           2
        .value_kind:     hidden_group_size_x
      - .offset:         46
        .size:           2
        .value_kind:     hidden_group_size_y
      - .offset:         48
        .size:           2
        .value_kind:     hidden_group_size_z
      - .offset:         50
        .size:           2
        .value_kind:     hidden_remainder_x
      - .offset:         52
        .size:           2
        .value_kind:     hidden_remainder_y
      - .offset:         54
        .size:           2
        .value_kind:     hidden_remainder_z
      - .offset:         72
        .size:           8
        .value_kind:     hidden_global_offset_x
      - .offset:         80
        .size:           8
        .value_kind:     hidden_global_offset_y
      - .offset:         88
        .size:           8
        .value_kind:     hidden_global_offset_z
      - .offset:         96
        .size:           2
        .value_kind:     hidden_grid_dims
    .group_segment_fixed_size: 0
    .kernarg_segment_align: 8
    .kernarg_segment_size: 288
    .language:       OpenCL C
    .language_version:
      - 2
      - 0
    .max_flat_workgroup_size: 1024
    .name:           _Z11calculate_FdPKdS0_Pd
    .private_segment_fixed_size: 0
    .sgpr_count:     20
    .sgpr_spill_count: 0
    .symbol:         _Z11calculate_FdPKdS0_Pd.kd
    .uniform_work_group_size: 1
    .uses_dynamic_stack: false
    .vgpr_count:     34
    .vgpr_spill_count: 0
    .wavefront_size: 64
  - .agpr_count:     0
    .args:
      - .offset:         0
        .size:           8
        .value_kind:     by_value
      - .actual_access:  read_only
        .address_space:  global
        .offset:         8
        .size:           8
        .value_kind:     global_buffer
      - .actual_access:  read_only
        .address_space:  global
        .offset:         16
        .size:           8
        .value_kind:     global_buffer
      - .actual_access:  write_only
        .address_space:  global
        .offset:         24
        .size:           8
        .value_kind:     global_buffer
      - .offset:         32
        .size:           4
        .value_kind:     hidden_block_count_x
      - .offset:         36
        .size:           4
        .value_kind:     hidden_block_count_y
      - .offset:         40
        .size:           4
        .value_kind:     hidden_block_count_z
      - .offset:         44
        .size:           2
        .value_kind:     hidden_group_size_x
      - .offset:         46
        .size:           2
        .value_kind:     hidden_group_size_y
      - .offset:         48
        .size:           2
        .value_kind:     hidden_group_size_z
      - .offset:         50
        .size:           2
        .value_kind:     hidden_remainder_x
      - .offset:         52
        .size:           2
        .value_kind:     hidden_remainder_y
      - .offset:         54
        .size:           2
        .value_kind:     hidden_remainder_z
      - .offset:         72
        .size:           8
        .value_kind:     hidden_global_offset_x
      - .offset:         80
        .size:           8
        .value_kind:     hidden_global_offset_y
      - .offset:         88
        .size:           8
        .value_kind:     hidden_global_offset_z
      - .offset:         96
        .size:           2
        .value_kind:     hidden_grid_dims
    .group_segment_fixed_size: 0
    .kernarg_segment_align: 8
    .kernarg_segment_size: 288
    .language:       OpenCL C
    .language_version:
      - 2
      - 0
    .max_flat_workgroup_size: 1024
    .name:           _Z11calculate_GdPKdS0_Pd
    .private_segment_fixed_size: 0
    .sgpr_count:     20
    .sgpr_spill_count: 0
    .symbol:         _Z11calculate_GdPKdS0_Pd.kd
    .uniform_work_group_size: 1
    .uses_dynamic_stack: false
    .vgpr_count:     38
    .vgpr_spill_count: 0
    .wavefront_size: 64
  - .agpr_count:     0
    .args:
      - .actual_access:  read_only
        .address_space:  global
        .offset:         0
        .size:           8
        .value_kind:     global_buffer
      - .actual_access:  read_only
        .address_space:  global
        .offset:         8
        .size:           8
        .value_kind:     global_buffer
      - .actual_access:  write_only
        .address_space:  global
        .offset:         16
        .size:           8
        .value_kind:     global_buffer
      - .offset:         24
        .size:           4
        .value_kind:     hidden_block_count_x
      - .offset:         28
        .size:           4
        .value_kind:     hidden_block_count_y
      - .offset:         32
        .size:           4
        .value_kind:     hidden_block_count_z
      - .offset:         36
        .size:           2
        .value_kind:     hidden_group_size_x
      - .offset:         38
        .size:           2
        .value_kind:     hidden_group_size_y
      - .offset:         40
        .size:           2
        .value_kind:     hidden_group_size_z
      - .offset:         42
        .size:           2
        .value_kind:     hidden_remainder_x
      - .offset:         44
        .size:           2
        .value_kind:     hidden_remainder_y
      - .offset:         46
        .size:           2
        .value_kind:     hidden_remainder_z
      - .offset:         64
        .size:           8
        .value_kind:     hidden_global_offset_x
      - .offset:         72
        .size:           8
        .value_kind:     hidden_global_offset_y
      - .offset:         80
        .size:           8
        .value_kind:     hidden_global_offset_z
      - .offset:         88
        .size:           2
        .value_kind:     hidden_grid_dims
    .group_segment_fixed_size: 1024
    .kernarg_segment_align: 8
    .kernarg_segment_size: 280
    .language:       OpenCL C
    .language_version:
      - 2
      - 0
    .max_flat_workgroup_size: 1024
    .name:           _Z12sum_pressurePKdS0_Pd
    .private_segment_fixed_size: 0
    .sgpr_count:     18
    .sgpr_spill_count: 0
    .symbol:         _Z12sum_pressurePKdS0_Pd.kd
    .uniform_work_group_size: 1
    .uses_dynamic_stack: false
    .vgpr_count:     10
    .vgpr_spill_count: 0
    .wavefront_size: 64
  - .agpr_count:     0
    .args:
      - .address_space:  global
        .offset:         0
        .size:           8
        .value_kind:     global_buffer
      - .address_space:  global
        .offset:         8
        .size:           8
        .value_kind:     global_buffer
      - .offset:         16
        .size:           4
        .value_kind:     hidden_block_count_x
      - .offset:         20
        .size:           4
        .value_kind:     hidden_block_count_y
      - .offset:         24
        .size:           4
        .value_kind:     hidden_block_count_z
      - .offset:         28
        .size:           2
        .value_kind:     hidden_group_size_x
      - .offset:         30
        .size:           2
        .value_kind:     hidden_group_size_y
      - .offset:         32
        .size:           2
        .value_kind:     hidden_group_size_z
      - .offset:         34
        .size:           2
        .value_kind:     hidden_remainder_x
      - .offset:         36
        .size:           2
        .value_kind:     hidden_remainder_y
      - .offset:         38
        .size:           2
        .value_kind:     hidden_remainder_z
      - .offset:         56
        .size:           8
        .value_kind:     hidden_global_offset_x
      - .offset:         64
        .size:           8
        .value_kind:     hidden_global_offset_y
      - .offset:         72
        .size:           8
        .value_kind:     hidden_global_offset_z
      - .offset:         80
        .size:           2
        .value_kind:     hidden_grid_dims
    .group_segment_fixed_size: 0
    .kernarg_segment_align: 8
    .kernarg_segment_size: 272
    .language:       OpenCL C
    .language_version:
      - 2
      - 0
    .max_flat_workgroup_size: 1024
    .name:           _Z17set_horz_pres_BCsPdS_
    .private_segment_fixed_size: 0
    .sgpr_count:     14
    .sgpr_spill_count: 0
    .symbol:         _Z17set_horz_pres_BCsPdS_.kd
    .uniform_work_group_size: 1
    .uses_dynamic_stack: false
    .vgpr_count:     16
    .vgpr_spill_count: 0
    .wavefront_size: 64
  - .agpr_count:     0
    .args:
      - .address_space:  global
        .offset:         0
        .size:           8
        .value_kind:     global_buffer
      - .address_space:  global
        .offset:         8
        .size:           8
        .value_kind:     global_buffer
      - .offset:         16
        .size:           4
        .value_kind:     hidden_block_count_x
      - .offset:         20
        .size:           4
        .value_kind:     hidden_block_count_y
      - .offset:         24
        .size:           4
        .value_kind:     hidden_block_count_z
      - .offset:         28
        .size:           2
        .value_kind:     hidden_group_size_x
      - .offset:         30
        .size:           2
        .value_kind:     hidden_group_size_y
      - .offset:         32
        .size:           2
        .value_kind:     hidden_group_size_z
      - .offset:         34
        .size:           2
        .value_kind:     hidden_remainder_x
      - .offset:         36
        .size:           2
        .value_kind:     hidden_remainder_y
      - .offset:         38
        .size:           2
        .value_kind:     hidden_remainder_z
      - .offset:         56
        .size:           8
        .value_kind:     hidden_global_offset_x
      - .offset:         64
        .size:           8
        .value_kind:     hidden_global_offset_y
      - .offset:         72
        .size:           8
        .value_kind:     hidden_global_offset_z
      - .offset:         80
        .size:           2
        .value_kind:     hidden_grid_dims
    .group_segment_fixed_size: 0
    .kernarg_segment_align: 8
    .kernarg_segment_size: 272
    .language:       OpenCL C
    .language_version:
      - 2
      - 0
    .max_flat_workgroup_size: 1024
    .name:           _Z17set_vert_pres_BCsPdS_
    .private_segment_fixed_size: 0
    .sgpr_count:     14
    .sgpr_spill_count: 0
    .symbol:         _Z17set_vert_pres_BCsPdS_.kd
    .uniform_work_group_size: 1
    .uses_dynamic_stack: false
    .vgpr_count:     16
    .vgpr_spill_count: 0
    .wavefront_size: 64
  - .agpr_count:     0
    .args:
      - .offset:         0
        .size:           8
        .value_kind:     by_value
      - .actual_access:  read_only
        .address_space:  global
        .offset:         8
        .size:           8
        .value_kind:     global_buffer
      - .actual_access:  read_only
        .address_space:  global
        .offset:         16
        .size:           8
        .value_kind:     global_buffer
      - .actual_access:  read_only
        .address_space:  global
        .offset:         24
        .size:           8
        .value_kind:     global_buffer
      - .address_space:  global
        .offset:         32
        .size:           8
        .value_kind:     global_buffer
      - .offset:         40
        .size:           4
        .value_kind:     hidden_block_count_x
      - .offset:         44
        .size:           4
        .value_kind:     hidden_block_count_y
      - .offset:         48
        .size:           4
        .value_kind:     hidden_block_count_z
      - .offset:         52
        .size:           2
        .value_kind:     hidden_group_size_x
      - .offset:         54
        .size:           2
        .value_kind:     hidden_group_size_y
      - .offset:         56
        .size:           2
        .value_kind:     hidden_group_size_z
      - .offset:         58
        .size:           2
        .value_kind:     hidden_remainder_x
      - .offset:         60
        .size:           2
        .value_kind:     hidden_remainder_y
      - .offset:         62
        .size:           2
        .value_kind:     hidden_remainder_z
      - .offset:         80
        .size:           8
        .value_kind:     hidden_global_offset_x
      - .offset:         88
        .size:           8
        .value_kind:     hidden_global_offset_y
      - .offset:         96
        .size:           8
        .value_kind:     hidden_global_offset_z
      - .offset:         104
        .size:           2
        .value_kind:     hidden_grid_dims
    .group_segment_fixed_size: 0
    .kernarg_segment_align: 8
    .kernarg_segment_size: 296
    .language:       OpenCL C
    .language_version:
      - 2
      - 0
    .max_flat_workgroup_size: 1024
    .name:           _Z10red_kerneldPKdS0_S0_Pd
    .private_segment_fixed_size: 0
    .sgpr_count:     21
    .sgpr_spill_count: 0
    .symbol:         _Z10red_kerneldPKdS0_S0_Pd.kd
    .uniform_work_group_size: 1
    .uses_dynamic_stack: false
    .vgpr_count:     24
    .vgpr_spill_count: 0
    .wavefront_size: 64
  - .agpr_count:     0
    .args:
      - .offset:         0
        .size:           8
        .value_kind:     by_value
      - .actual_access:  read_only
        .address_space:  global
        .offset:         8
        .size:           8
        .value_kind:     global_buffer
      - .actual_access:  read_only
        .address_space:  global
        .offset:         16
        .size:           8
        .value_kind:     global_buffer
      - .actual_access:  read_only
        .address_space:  global
        .offset:         24
        .size:           8
        .value_kind:     global_buffer
      - .address_space:  global
        .offset:         32
        .size:           8
        .value_kind:     global_buffer
      - .offset:         40
        .size:           4
        .value_kind:     hidden_block_count_x
      - .offset:         44
        .size:           4
        .value_kind:     hidden_block_count_y
      - .offset:         48
        .size:           4
        .value_kind:     hidden_block_count_z
      - .offset:         52
        .size:           2
        .value_kind:     hidden_group_size_x
      - .offset:         54
        .size:           2
        .value_kind:     hidden_group_size_y
      - .offset:         56
        .size:           2
        .value_kind:     hidden_group_size_z
      - .offset:         58
        .size:           2
        .value_kind:     hidden_remainder_x
      - .offset:         60
        .size:           2
        .value_kind:     hidden_remainder_y
      - .offset:         62
        .size:           2
        .value_kind:     hidden_remainder_z
      - .offset:         80
        .size:           8
        .value_kind:     hidden_global_offset_x
      - .offset:         88
        .size:           8
        .value_kind:     hidden_global_offset_y
      - .offset:         96
        .size:           8
        .value_kind:     hidden_global_offset_z
      - .offset:         104
        .size:           2
        .value_kind:     hidden_grid_dims
    .group_segment_fixed_size: 0
    .kernarg_segment_align: 8
    .kernarg_segment_size: 296
    .language:       OpenCL C
    .language_version:
      - 2
      - 0
    .max_flat_workgroup_size: 1024
    .name:           _Z12black_kerneldPKdS0_S0_Pd
    .private_segment_fixed_size: 0
    .sgpr_count:     21
    .sgpr_spill_count: 0
    .symbol:         _Z12black_kerneldPKdS0_S0_Pd.kd
    .uniform_work_group_size: 1
    .uses_dynamic_stack: false
    .vgpr_count:     24
    .vgpr_spill_count: 0
    .wavefront_size: 64
  - .agpr_count:     0
    .args:
      - .offset:         0
        .size:           8
        .value_kind:     by_value
      - .actual_access:  read_only
        .address_space:  global
        .offset:         8
        .size:           8
        .value_kind:     global_buffer
      - .actual_access:  read_only
        .address_space:  global
        .offset:         16
        .size:           8
        .value_kind:     global_buffer
      - .actual_access:  read_only
        .address_space:  global
        .offset:         24
        .size:           8
        .value_kind:     global_buffer
      - .actual_access:  read_only
        .address_space:  global
        .offset:         32
        .size:           8
        .value_kind:     global_buffer
      - .actual_access:  write_only
        .address_space:  global
        .offset:         40
        .size:           8
        .value_kind:     global_buffer
      - .offset:         48
        .size:           4
        .value_kind:     hidden_block_count_x
      - .offset:         52
        .size:           4
        .value_kind:     hidden_block_count_y
      - .offset:         56
        .size:           4
        .value_kind:     hidden_block_count_z
      - .offset:         60
        .size:           2
        .value_kind:     hidden_group_size_x
      - .offset:         62
        .size:           2
        .value_kind:     hidden_group_size_y
      - .offset:         64
        .size:           2
        .value_kind:     hidden_group_size_z
      - .offset:         66
        .size:           2
        .value_kind:     hidden_remainder_x
      - .offset:         68
        .size:           2
        .value_kind:     hidden_remainder_y
      - .offset:         70
        .size:           2
        .value_kind:     hidden_remainder_z
      - .offset:         88
        .size:           8
        .value_kind:     hidden_global_offset_x
      - .offset:         96
        .size:           8
        .value_kind:     hidden_global_offset_y
      - .offset:         104
        .size:           8
        .value_kind:     hidden_global_offset_z
      - .offset:         112
        .size:           2
        .value_kind:     hidden_grid_dims
    .group_segment_fixed_size: 1024
    .kernarg_segment_align: 8
    .kernarg_segment_size: 304
    .language:       OpenCL C
    .language_version:
      - 2
      - 0
    .max_flat_workgroup_size: 1024
    .name:           _Z13calc_residualdPKdS0_S0_S0_Pd
    .private_segment_fixed_size: 0
    .sgpr_count:     24
    .sgpr_spill_count: 0
    .symbol:         _Z13calc_residualdPKdS0_S0_S0_Pd.kd
    .uniform_work_group_size: 1
    .uses_dynamic_stack: false
    .vgpr_count:     46
    .vgpr_spill_count: 0
    .wavefront_size: 64
  - .agpr_count:     0
    .args:
      - .offset:         0
        .size:           8
        .value_kind:     by_value
      - .actual_access:  read_only
        .address_space:  global
        .offset:         8
        .size:           8
        .value_kind:     global_buffer
      - .actual_access:  read_only
        .address_space:  global
        .offset:         16
        .size:           8
        .value_kind:     global_buffer
      - .actual_access:  read_only
        .address_space:  global
        .offset:         24
        .size:           8
        .value_kind:     global_buffer
      - .address_space:  global
        .offset:         32
        .size:           8
        .value_kind:     global_buffer
      - .actual_access:  write_only
        .address_space:  global
        .offset:         40
        .size:           8
        .value_kind:     global_buffer
      - .offset:         48
        .size:           4
        .value_kind:     hidden_block_count_x
      - .offset:         52
        .size:           4
        .value_kind:     hidden_block_count_y
      - .offset:         56
        .size:           4
        .value_kind:     hidden_block_count_z
      - .offset:         60
        .size:           2
        .value_kind:     hidden_group_size_x
      - .offset:         62
        .size:           2
        .value_kind:     hidden_group_size_y
      - .offset:         64
        .size:           2
        .value_kind:     hidden_group_size_z
      - .offset:         66
        .size:           2
        .value_kind:     hidden_remainder_x
      - .offset:         68
        .size:           2
        .value_kind:     hidden_remainder_y
      - .offset:         70
        .size:           2
        .value_kind:     hidden_remainder_z
      - .offset:         88
        .size:           8
        .value_kind:     hidden_global_offset_x
      - .offset:         96
        .size:           8
        .value_kind:     hidden_global_offset_y
      - .offset:         104
        .size:           8
        .value_kind:     hidden_global_offset_z
      - .offset:         112
        .size:           2
        .value_kind:     hidden_grid_dims
    .group_segment_fixed_size: 1024
    .kernarg_segment_align: 8
    .kernarg_segment_size: 304
    .language:       OpenCL C
    .language_version:
      - 2
      - 0
    .max_flat_workgroup_size: 1024
    .name:           _Z11calculate_udPKdS0_S0_PdS1_
    .private_segment_fixed_size: 0
    .sgpr_count:     26
    .sgpr_spill_count: 0
    .symbol:         _Z11calculate_udPKdS0_S0_PdS1_.kd
    .uniform_work_group_size: 1
    .uses_dynamic_stack: false
    .vgpr_count:     20
    .vgpr_spill_count: 0
    .wavefront_size: 64
  - .agpr_count:     0
    .args:
      - .offset:         0
        .size:           8
        .value_kind:     by_value
      - .actual_access:  read_only
        .address_space:  global
        .offset:         8
        .size:           8
        .value_kind:     global_buffer
      - .actual_access:  read_only
        .address_space:  global
        .offset:         16
        .size:           8
        .value_kind:     global_buffer
      - .actual_access:  read_only
        .address_space:  global
        .offset:         24
        .size:           8
        .value_kind:     global_buffer
      - .address_space:  global
        .offset:         32
        .size:           8
        .value_kind:     global_buffer
      - .actual_access:  write_only
        .address_space:  global
        .offset:         40
        .size:           8
        .value_kind:     global_buffer
      - .offset:         48
        .size:           4
        .value_kind:     hidden_block_count_x
      - .offset:         52
        .size:           4
        .value_kind:     hidden_block_count_y
      - .offset:         56
        .size:           4
        .value_kind:     hidden_block_count_z
      - .offset:         60
        .size:           2
        .value_kind:     hidden_group_size_x
      - .offset:         62
        .size:           2
        .value_kind:     hidden_group_size_y
      - .offset:         64
        .size:           2
        .value_kind:     hidden_group_size_z
      - .offset:         66
        .size:           2
        .value_kind:     hidden_remainder_x
      - .offset:         68
        .size:           2
        .value_kind:     hidden_remainder_y
      - .offset:         70
        .size:           2
        .value_kind:     hidden_remainder_z
      - .offset:         88
        .size:           8
        .value_kind:     hidden_global_offset_x
      - .offset:         96
        .size:           8
        .value_kind:     hidden_global_offset_y
      - .offset:         104
        .size:           8
        .value_kind:     hidden_global_offset_z
      - .offset:         112
        .size:           2
        .value_kind:     hidden_grid_dims
    .group_segment_fixed_size: 1024
    .kernarg_segment_align: 8
    .kernarg_segment_size: 304
    .language:       OpenCL C
    .language_version:
      - 2
      - 0
    .max_flat_workgroup_size: 1024
    .name:           _Z11calculate_vdPKdS0_S0_PdS1_
    .private_segment_fixed_size: 0
    .sgpr_count:     25
    .sgpr_spill_count: 0
    .symbol:         _Z11calculate_vdPKdS0_S0_PdS1_.kd
    .uniform_work_group_size: 1
    .uses_dynamic_stack: false
    .vgpr_count:     20
    .vgpr_spill_count: 0
    .wavefront_size: 64
amdhsa.target:   amdgcn-amd-amdhsa--gfx950
amdhsa.version:
  - 1
  - 2
...

	.end_amdgpu_metadata
